;; amdgpu-corpus repo=zjin-lcf/HeCBench kind=compiled arch=gfx1100 opt=O3
	.text
	.amdgcn_target "amdgcn-amd-amdhsa--gfx1100"
	.amdhsa_code_object_version 6
	.protected	_Z14calculateForcePA400_A400_dS1_S1_S1_dddddd ; -- Begin function _Z14calculateForcePA400_A400_dS1_S1_S1_dddddd
	.globl	_Z14calculateForcePA400_A400_dS1_S1_S1_dddddd
	.p2align	8
	.type	_Z14calculateForcePA400_A400_dS1_S1_S1_dddddd,@function
_Z14calculateForcePA400_A400_dS1_S1_S1_dddddd: ; @_Z14calculateForcePA400_A400_dS1_S1_S1_dddddd
; %bb.0:
	s_load_b64 s[2:3], s[0:1], 0x5c
	v_and_b32_e32 v1, 0x3ff, v0
	v_bfe_u32 v2, v0, 10, 10
	v_bfe_u32 v4, v0, 20, 10
	s_waitcnt lgkmcnt(0)
	s_lshr_b32 s4, s2, 16
	s_and_b32 s2, s2, 0xffff
	s_and_b32 s3, s3, 0xffff
	v_mad_u64_u32 v[5:6], null, s13, s2, v[1:2]
	v_mov_b32_e32 v6, 0
	v_mad_u64_u32 v[0:1], null, s14, s4, v[2:3]
	s_delay_alu instid0(VALU_DEP_3) | instskip(SKIP_1) | instid1(VALU_DEP_2)
	v_mad_u64_u32 v[2:3], null, s15, s3, v[4:5]
	s_load_b512 s[8:23], s[0:1], 0x0
	v_cmp_eq_u32_e64 s2, 0, v0
	v_cmp_eq_u32_e64 s4, 0, v5
	s_delay_alu instid0(VALU_DEP_3) | instskip(SKIP_1) | instid1(VALU_DEP_2)
	v_max3_u32 v1, v5, v0, v2
	v_cmp_eq_u32_e32 vcc_lo, 0, v2
	v_cmp_lt_u32_e64 s3, 0x18e, v1
	s_or_b32 s2, vcc_lo, s2
	s_delay_alu instid0(VALU_DEP_1) | instid1(SALU_CYCLE_1)
	s_or_b32 s3, s2, s3
	s_mov_b32 s2, 0
	s_or_b32 s3, s4, s3
	s_delay_alu instid0(SALU_CYCLE_1) | instskip(NEXT) | instid1(SALU_CYCLE_1)
	s_and_saveexec_b32 s4, s3
	s_xor_b32 s4, exec_lo, s4
	s_cbranch_execnz .LBB0_3
; %bb.1:
	s_and_not1_saveexec_b32 s2, s4
	s_cbranch_execnz .LBB0_4
.LBB0_2:
	s_nop 0
	s_sendmsg sendmsg(MSG_DEALLOC_VGPRS)
	s_endpgm
.LBB0_3:
	v_mad_u64_u32 v[3:4], null, 0x138800, v2, 0
	v_mad_u64_u32 v[1:2], null, 0xc80, v0, 0
	v_lshlrev_b64 v[5:6], 3, v[5:6]
	s_mov_b32 s3, s2
	s_waitcnt lgkmcnt(0)
	s_delay_alu instid0(VALU_DEP_3) | instskip(NEXT) | instid1(VALU_DEP_4)
	v_add_co_u32 v0, vcc_lo, s10, v3
	v_add_co_ci_u32_e32 v7, vcc_lo, s11, v4, vcc_lo
	s_delay_alu instid0(VALU_DEP_2) | instskip(NEXT) | instid1(VALU_DEP_2)
	v_add_co_u32 v0, vcc_lo, v0, v1
	v_add_co_ci_u32_e32 v10, vcc_lo, v7, v2, vcc_lo
	v_dual_mov_b32 v8, s3 :: v_dual_mov_b32 v7, s2
	s_delay_alu instid0(VALU_DEP_3) | instskip(NEXT) | instid1(VALU_DEP_3)
	v_add_co_u32 v9, vcc_lo, v0, v5
	v_add_co_ci_u32_e32 v10, vcc_lo, v10, v6, vcc_lo
	v_add_co_u32 v0, vcc_lo, s12, v3
	v_add_co_ci_u32_e32 v11, vcc_lo, s13, v4, vcc_lo
	;; [unrolled: 2-line block ×3, first 2 shown]
	s_delay_alu instid0(VALU_DEP_4) | instskip(NEXT) | instid1(VALU_DEP_4)
	v_add_co_u32 v0, vcc_lo, v0, v1
	v_add_co_ci_u32_e32 v11, vcc_lo, v11, v2, vcc_lo
	s_delay_alu instid0(VALU_DEP_4) | instskip(NEXT) | instid1(VALU_DEP_4)
	v_add_co_u32 v3, vcc_lo, v3, v1
	v_add_co_ci_u32_e32 v4, vcc_lo, v4, v2, vcc_lo
	;; [unrolled: 3-line block ×4, first 2 shown]
	global_store_b64 v[9:10], v[7:8], off
	global_store_b64 v[0:1], v[7:8], off
	;; [unrolled: 1-line block ×3, first 2 shown]
                                        ; implicit-def: $vgpr2_vgpr3
                                        ; implicit-def: $vgpr0_vgpr1
                                        ; implicit-def: $vgpr5_vgpr6
	s_and_not1_saveexec_b32 s2, s4
	s_cbranch_execz .LBB0_2
.LBB0_4:
	s_waitcnt lgkmcnt(0)
	v_mad_u64_u32 v[7:8], null, 0x138800, v2, s[8:9]
	v_dual_mov_b32 v6, 0 :: v_dual_add_nc_u32 v1, -1, v0
	v_add_f64 v[19:20], s[16:17], s[16:17]
	v_add_f64 v[21:22], s[20:21], s[20:21]
	s_delay_alu instid0(VALU_DEP_3) | instskip(SKIP_3) | instid1(VALU_DEP_3)
	v_lshlrev_b64 v[3:4], 3, v[5:6]
	v_mad_u64_u32 v[9:10], null, 0xc80, v0, v[7:8]
	v_mad_u64_u32 v[13:14], null, 0xc80, v1, v[7:8]
	v_add_nc_u32_e32 v5, -1, v5
	v_add_co_u32 v11, vcc_lo, v9, v3
	s_delay_alu instid0(VALU_DEP_4) | instskip(NEXT) | instid1(VALU_DEP_3)
	v_add_co_ci_u32_e32 v12, vcc_lo, v10, v4, vcc_lo
	v_lshlrev_b64 v[5:6], 3, v[5:6]
	s_delay_alu instid0(VALU_DEP_3) | instskip(NEXT) | instid1(VALU_DEP_3)
	v_add_co_u32 v7, vcc_lo, 0x138000, v11
	v_add_co_ci_u32_e32 v8, vcc_lo, 0, v12, vcc_lo
	v_add_co_u32 v15, vcc_lo, 0xffec8000, v11
	v_add_co_ci_u32_e32 v16, vcc_lo, -1, v12, vcc_lo
	v_add_co_u32 v13, vcc_lo, v13, v3
	v_add_co_ci_u32_e32 v14, vcc_lo, v14, v4, vcc_lo
	s_clause 0x3
	global_load_b64 v[15:16], v[15:16], off offset:-2048
	global_load_b64 v[7:8], v[7:8], off offset:2048
	global_load_b64 v[13:14], v[13:14], off
	global_load_b64 v[17:18], v[11:12], off offset:3200
	v_add_co_u32 v5, vcc_lo, v9, v5
	v_add_co_ci_u32_e32 v6, vcc_lo, v10, v6, vcc_lo
	s_clause 0x1
	global_load_b64 v[5:6], v[5:6], off
	global_load_b64 v[9:10], v[11:12], off offset:8
	v_add_f64 v[11:12], s[18:19], s[18:19]
	s_waitcnt vmcnt(4)
	v_add_f64 v[7:8], v[7:8], -v[15:16]
	s_waitcnt vmcnt(2)
	v_add_f64 v[13:14], v[17:18], -v[13:14]
	;; [unrolled: 2-line block ×3, first 2 shown]
	s_delay_alu instid0(VALU_DEP_3) | instskip(NEXT) | instid1(VALU_DEP_3)
	v_div_scale_f64 v[15:16], null, v[19:20], v[19:20], v[7:8]
	v_div_scale_f64 v[17:18], null, v[11:12], v[11:12], v[13:14]
	s_delay_alu instid0(VALU_DEP_3) | instskip(SKIP_1) | instid1(VALU_DEP_4)
	v_div_scale_f64 v[25:26], null, v[21:22], v[21:22], v[5:6]
	v_div_scale_f64 v[39:40], s3, v[5:6], v[21:22], v[5:6]
	v_rcp_f64_e32 v[9:10], v[15:16]
	s_delay_alu instid0(VALU_DEP_3) | instskip(NEXT) | instid1(VALU_DEP_2)
	v_rcp_f64_e32 v[23:24], v[17:18]
	v_rcp_f64_e32 v[31:32], v[25:26]
	s_delay_alu instid0(TRANS32_DEP_3) | instskip(SKIP_4) | instid1(VALU_DEP_3)
	v_fma_f64 v[27:28], -v[15:16], v[9:10], 1.0
	s_waitcnt_depctr 0xfff
	v_fma_f64 v[29:30], -v[17:18], v[23:24], 1.0
	v_fma_f64 v[9:10], v[9:10], v[27:28], v[9:10]
	v_fma_f64 v[27:28], -v[25:26], v[31:32], 1.0
	v_fma_f64 v[23:24], v[23:24], v[29:30], v[23:24]
	s_delay_alu instid0(VALU_DEP_3) | instskip(NEXT) | instid1(VALU_DEP_3)
	v_fma_f64 v[29:30], -v[15:16], v[9:10], 1.0
	v_fma_f64 v[27:28], v[31:32], v[27:28], v[31:32]
	s_delay_alu instid0(VALU_DEP_3) | instskip(SKIP_1) | instid1(VALU_DEP_4)
	v_fma_f64 v[33:34], -v[17:18], v[23:24], 1.0
	v_div_scale_f64 v[31:32], vcc_lo, v[7:8], v[19:20], v[7:8]
	v_fma_f64 v[9:10], v[9:10], v[29:30], v[9:10]
	v_div_scale_f64 v[29:30], s2, v[13:14], v[11:12], v[13:14]
	s_delay_alu instid0(VALU_DEP_4) | instskip(SKIP_1) | instid1(VALU_DEP_4)
	v_fma_f64 v[23:24], v[23:24], v[33:34], v[23:24]
	v_fma_f64 v[33:34], -v[25:26], v[27:28], 1.0
	v_mul_f64 v[35:36], v[31:32], v[9:10]
	s_delay_alu instid0(VALU_DEP_3) | instskip(NEXT) | instid1(VALU_DEP_3)
	v_mul_f64 v[37:38], v[29:30], v[23:24]
	v_fma_f64 v[27:28], v[27:28], v[33:34], v[27:28]
	s_delay_alu instid0(VALU_DEP_3) | instskip(NEXT) | instid1(VALU_DEP_3)
	v_fma_f64 v[15:16], -v[15:16], v[35:36], v[31:32]
                                        ; implicit-def: $vgpr31_vgpr32
	v_fma_f64 v[17:18], -v[17:18], v[37:38], v[29:30]
	s_delay_alu instid0(VALU_DEP_3) | instskip(NEXT) | instid1(VALU_DEP_3)
	v_mul_f64 v[29:30], v[39:40], v[27:28]
	v_div_fmas_f64 v[9:10], v[15:16], v[9:10], v[35:36]
	s_mov_b32 vcc_lo, s2
	s_delay_alu instid0(VALU_DEP_3) | instskip(NEXT) | instid1(VALU_DEP_3)
	v_div_fmas_f64 v[15:16], v[17:18], v[23:24], v[37:38]
	v_fma_f64 v[17:18], -v[25:26], v[29:30], v[39:40]
	s_mov_b32 vcc_lo, s3
	s_delay_alu instid0(VALU_DEP_2) | instskip(NEXT) | instid1(VALU_DEP_2)
	v_div_fixup_f64 v[11:12], v[15:16], v[11:12], v[13:14]
	v_div_fmas_f64 v[13:14], v[17:18], v[27:28], v[29:30]
	v_div_fixup_f64 v[17:18], v[9:10], v[19:20], v[7:8]
	s_delay_alu instid0(VALU_DEP_3) | instskip(NEXT) | instid1(VALU_DEP_3)
	v_mul_f64 v[7:8], v[11:12], v[11:12]
	v_div_fixup_f64 v[5:6], v[13:14], v[21:22], v[5:6]
	s_delay_alu instid0(VALU_DEP_3) | instskip(SKIP_1) | instid1(VALU_DEP_4)
	v_cmp_neq_f64_e64 s2, 0, v[17:18]
	v_cmp_neq_f64_e64 s3, 0, v[11:12]
	v_fma_f64 v[9:10], v[17:18], v[17:18], v[7:8]
	s_delay_alu instid0(VALU_DEP_4) | instskip(NEXT) | instid1(VALU_DEP_3)
	v_cmp_neq_f64_e64 s4, 0, v[5:6]
	s_or_b32 s5, s2, s3
	s_delay_alu instid0(VALU_DEP_2) | instskip(NEXT) | instid1(VALU_DEP_2)
	v_fma_f64 v[21:22], v[5:6], v[5:6], v[9:10]
	s_or_b32 s6, s5, s4
	s_delay_alu instid0(SALU_CYCLE_1) | instskip(NEXT) | instid1(SALU_CYCLE_1)
	s_xor_b32 s5, s6, -1
	s_and_saveexec_b32 s7, s5
	s_delay_alu instid0(SALU_CYCLE_1)
	s_xor_b32 s5, exec_lo, s7
; %bb.5:
	s_mov_b32 s8, 0xaaaaaaab
	s_mov_b32 s9, 0xbffaaaaa
	s_delay_alu instid0(SALU_CYCLE_1)
	v_fma_f64 v[31:32], s[22:23], s[8:9], 1.0
; %bb.6:
	s_or_saveexec_b32 s7, s5
	v_mul_f64 v[19:20], v[17:18], v[17:18]
	v_mul_f64 v[15:16], v[7:8], v[7:8]
	;; [unrolled: 1-line block ×4, first 2 shown]
	s_delay_alu instid0(VALU_DEP_3)
	v_fma_f64 v[15:16], v[19:20], v[19:20], v[15:16]
	s_xor_b32 exec_lo, exec_lo, s7
	s_cbranch_execz .LBB0_8
; %bb.7:
	v_fma_f64 v[25:26], 0xc0080000, s[22:23], 1.0
	v_mul_f64 v[27:28], s[22:23], 4.0
	s_delay_alu instid0(VALU_DEP_3) | instskip(NEXT) | instid1(VALU_DEP_2)
	v_fma_f64 v[29:30], v[13:14], v[13:14], v[15:16]
	v_div_scale_f64 v[31:32], null, v[25:26], v[25:26], v[27:28]
	s_delay_alu instid0(VALU_DEP_2) | instskip(SKIP_1) | instid1(VALU_DEP_3)
	v_div_scale_f64 v[33:34], null, v[23:24], v[23:24], v[29:30]
	v_div_scale_f64 v[43:44], vcc_lo, v[27:28], v[25:26], v[27:28]
	v_rcp_f64_e32 v[35:36], v[31:32]
	s_delay_alu instid0(VALU_DEP_2) | instskip(SKIP_3) | instid1(VALU_DEP_2)
	v_rcp_f64_e32 v[37:38], v[33:34]
	s_waitcnt_depctr 0xfff
	v_fma_f64 v[39:40], -v[31:32], v[35:36], 1.0
	v_fma_f64 v[41:42], -v[33:34], v[37:38], 1.0
	v_fma_f64 v[35:36], v[35:36], v[39:40], v[35:36]
	s_delay_alu instid0(VALU_DEP_2) | instskip(NEXT) | instid1(VALU_DEP_2)
	v_fma_f64 v[37:38], v[37:38], v[41:42], v[37:38]
	v_fma_f64 v[39:40], -v[31:32], v[35:36], 1.0
	s_delay_alu instid0(VALU_DEP_2) | instskip(NEXT) | instid1(VALU_DEP_2)
	v_fma_f64 v[41:42], -v[33:34], v[37:38], 1.0
	v_fma_f64 v[35:36], v[35:36], v[39:40], v[35:36]
	v_div_scale_f64 v[39:40], s5, v[29:30], v[23:24], v[29:30]
	s_delay_alu instid0(VALU_DEP_3) | instskip(NEXT) | instid1(VALU_DEP_3)
	v_fma_f64 v[37:38], v[37:38], v[41:42], v[37:38]
	v_mul_f64 v[41:42], v[43:44], v[35:36]
	s_delay_alu instid0(VALU_DEP_2) | instskip(NEXT) | instid1(VALU_DEP_2)
	v_mul_f64 v[45:46], v[39:40], v[37:38]
	v_fma_f64 v[31:32], -v[31:32], v[41:42], v[43:44]
	s_delay_alu instid0(VALU_DEP_2) | instskip(NEXT) | instid1(VALU_DEP_2)
	v_fma_f64 v[33:34], -v[33:34], v[45:46], v[39:40]
	v_div_fmas_f64 v[31:32], v[31:32], v[35:36], v[41:42]
	s_mov_b32 vcc_lo, s5
	s_delay_alu instid0(VALU_DEP_2) | instskip(NEXT) | instid1(VALU_DEP_2)
	v_div_fmas_f64 v[33:34], v[33:34], v[37:38], v[45:46]
	v_div_fixup_f64 v[27:28], v[31:32], v[25:26], v[27:28]
	s_delay_alu instid0(VALU_DEP_2) | instskip(NEXT) | instid1(VALU_DEP_1)
	v_div_fixup_f64 v[29:30], v[33:34], v[23:24], v[29:30]
	v_fma_f64 v[27:28], v[27:28], v[29:30], 1.0
	s_delay_alu instid0(VALU_DEP_1)
	v_mul_f64 v[31:32], v[25:26], v[27:28]
.LBB0_8:
	s_or_b32 exec_lo, exec_lo, s7
	s_delay_alu instid0(VALU_DEP_3) | instskip(SKIP_3) | instid1(VALU_DEP_1)
	v_add_f64 v[25:26], v[7:8], v[13:14]
	v_mul_f64 v[29:30], v[13:14], v[13:14]
	v_mov_b32_e32 v27, 0
	v_mov_b32_e32 v28, 0
	v_dual_mov_b32 v34, v28 :: v_dual_mov_b32 v33, v27
	s_and_saveexec_b32 s5, s6
	s_cbranch_execz .LBB0_10
; %bb.9:
	s_delay_alu instid0(VALU_DEP_4) | instskip(SKIP_1) | instid1(VALU_DEP_2)
	v_fma_f64 v[33:34], v[7:8], v[7:8], v[29:30]
	v_mul_f64 v[35:36], v[17:18], v[19:20]
	v_mul_f64 v[33:34], v[17:18], v[33:34]
	s_delay_alu instid0(VALU_DEP_1) | instskip(NEXT) | instid1(VALU_DEP_1)
	v_fma_f64 v[33:34], v[35:36], v[25:26], -v[33:34]
	v_div_scale_f64 v[35:36], null, v[23:24], v[23:24], v[33:34]
	s_delay_alu instid0(VALU_DEP_1) | instskip(SKIP_2) | instid1(VALU_DEP_1)
	v_rcp_f64_e32 v[37:38], v[35:36]
	s_waitcnt_depctr 0xfff
	v_fma_f64 v[39:40], -v[35:36], v[37:38], 1.0
	v_fma_f64 v[37:38], v[37:38], v[39:40], v[37:38]
	s_delay_alu instid0(VALU_DEP_1) | instskip(NEXT) | instid1(VALU_DEP_1)
	v_fma_f64 v[39:40], -v[35:36], v[37:38], 1.0
	v_fma_f64 v[37:38], v[37:38], v[39:40], v[37:38]
	v_div_scale_f64 v[39:40], vcc_lo, v[33:34], v[23:24], v[33:34]
	s_delay_alu instid0(VALU_DEP_1) | instskip(NEXT) | instid1(VALU_DEP_1)
	v_mul_f64 v[41:42], v[39:40], v[37:38]
	v_fma_f64 v[35:36], -v[35:36], v[41:42], v[39:40]
	s_delay_alu instid0(VALU_DEP_1) | instskip(NEXT) | instid1(VALU_DEP_1)
	v_div_fmas_f64 v[35:36], v[35:36], v[37:38], v[41:42]
	v_div_fixup_f64 v[33:34], v[35:36], v[23:24], v[33:34]
.LBB0_10:
	s_or_b32 exec_lo, exec_lo, s5
	s_load_b64 s[0:1], s[0:1], 0x40
	s_waitcnt lgkmcnt(0)
	v_ldexp_f64 v[23:24], s[0:1], 4
	v_mul_f64 v[31:32], v[31:32], s[0:1]
	s_or_b32 s0, s3, s4
	s_delay_alu instid0(SALU_CYCLE_1) | instskip(NEXT) | instid1(VALU_DEP_2)
	s_or_b32 s1, s2, s0
	v_mul_f64 v[23:24], v[23:24], s[22:23]
	s_delay_alu instid0(VALU_DEP_2) | instskip(NEXT) | instid1(VALU_DEP_1)
	v_mul_f64 v[21:22], v[21:22], v[31:32]
	v_mul_f64 v[23:24], v[23:24], v[21:22]
	v_mul_f64 v[21:22], v[31:32], v[31:32]
	s_delay_alu instid0(VALU_DEP_2) | instskip(SKIP_1) | instid1(VALU_DEP_1)
	v_mul_f64 v[31:32], v[23:24], v[33:34]
	v_mad_u64_u32 v[33:34], null, 0x138800, v2, s[10:11]
	v_mad_u64_u32 v[35:36], null, 0xc80, v0, v[33:34]
	s_delay_alu instid0(VALU_DEP_1) | instskip(NEXT) | instid1(VALU_DEP_2)
	v_add_co_u32 v33, vcc_lo, v35, v3
	v_add_co_ci_u32_e32 v34, vcc_lo, v36, v4, vcc_lo
	v_fma_f64 v[31:32], v[17:18], v[21:22], v[31:32]
	v_add_f64 v[17:18], v[19:20], v[13:14]
	global_store_b64 v[33:34], v[31:32], off
	s_and_saveexec_b32 s0, s1
	s_cbranch_execz .LBB0_12
; %bb.11:
	v_fma_f64 v[27:28], v[19:20], v[19:20], v[29:30]
	v_mul_f64 v[29:30], v[11:12], v[7:8]
	v_add_f64 v[19:20], v[19:20], v[25:26]
	s_delay_alu instid0(VALU_DEP_3) | instskip(NEXT) | instid1(VALU_DEP_2)
	v_mul_f64 v[25:26], v[11:12], v[27:28]
	v_mul_f64 v[19:20], v[19:20], v[19:20]
	s_delay_alu instid0(VALU_DEP_2) | instskip(NEXT) | instid1(VALU_DEP_1)
	v_fma_f64 v[25:26], v[29:30], v[17:18], -v[25:26]
	v_div_scale_f64 v[27:28], null, v[19:20], v[19:20], v[25:26]
	s_delay_alu instid0(VALU_DEP_1) | instskip(SKIP_2) | instid1(VALU_DEP_1)
	v_rcp_f64_e32 v[29:30], v[27:28]
	s_waitcnt_depctr 0xfff
	v_fma_f64 v[31:32], -v[27:28], v[29:30], 1.0
	v_fma_f64 v[29:30], v[29:30], v[31:32], v[29:30]
	s_delay_alu instid0(VALU_DEP_1) | instskip(NEXT) | instid1(VALU_DEP_1)
	v_fma_f64 v[31:32], -v[27:28], v[29:30], 1.0
	v_fma_f64 v[29:30], v[29:30], v[31:32], v[29:30]
	v_div_scale_f64 v[31:32], vcc_lo, v[25:26], v[19:20], v[25:26]
	s_delay_alu instid0(VALU_DEP_1) | instskip(NEXT) | instid1(VALU_DEP_1)
	v_mul_f64 v[33:34], v[31:32], v[29:30]
	v_fma_f64 v[27:28], -v[27:28], v[33:34], v[31:32]
	s_delay_alu instid0(VALU_DEP_1) | instskip(NEXT) | instid1(VALU_DEP_1)
	v_div_fmas_f64 v[27:28], v[27:28], v[29:30], v[33:34]
	v_div_fixup_f64 v[27:28], v[27:28], v[19:20], v[25:26]
.LBB0_12:
	s_or_b32 exec_lo, exec_lo, s0
	s_delay_alu instid0(VALU_DEP_1) | instskip(SKIP_1) | instid1(SALU_CYCLE_1)
	v_mul_f64 v[19:20], v[23:24], v[27:28]
	s_or_b32 s0, s2, s4
	s_or_b32 s1, s3, s0
	s_delay_alu instid0(VALU_DEP_1) | instskip(SKIP_1) | instid1(VALU_DEP_1)
	v_fma_f64 v[19:20], v[11:12], v[21:22], v[19:20]
	v_mad_u64_u32 v[11:12], null, 0x138800, v2, s[12:13]
	v_mad_u64_u32 v[25:26], null, 0xc80, v0, v[11:12]
	v_mov_b32_e32 v11, 0
	v_mov_b32_e32 v12, 0
	s_delay_alu instid0(VALU_DEP_3) | instskip(NEXT) | instid1(VALU_DEP_4)
	v_add_co_u32 v25, vcc_lo, v25, v3
	v_add_co_ci_u32_e32 v26, vcc_lo, v26, v4, vcc_lo
	global_store_b64 v[25:26], v[19:20], off
	s_and_saveexec_b32 s0, s1
	s_cbranch_execz .LBB0_14
; %bb.13:
	v_mul_f64 v[11:12], v[5:6], v[13:14]
	v_mul_f64 v[13:14], v[5:6], v[15:16]
	v_add_f64 v[7:8], v[7:8], v[17:18]
	s_delay_alu instid0(VALU_DEP_2) | instskip(NEXT) | instid1(VALU_DEP_2)
	v_fma_f64 v[9:10], v[9:10], v[11:12], -v[13:14]
	v_mul_f64 v[7:8], v[7:8], v[7:8]
	s_delay_alu instid0(VALU_DEP_1) | instskip(NEXT) | instid1(VALU_DEP_1)
	v_div_scale_f64 v[11:12], null, v[7:8], v[7:8], v[9:10]
	v_rcp_f64_e32 v[13:14], v[11:12]
	s_waitcnt_depctr 0xfff
	v_fma_f64 v[15:16], -v[11:12], v[13:14], 1.0
	s_delay_alu instid0(VALU_DEP_1) | instskip(NEXT) | instid1(VALU_DEP_1)
	v_fma_f64 v[13:14], v[13:14], v[15:16], v[13:14]
	v_fma_f64 v[15:16], -v[11:12], v[13:14], 1.0
	s_delay_alu instid0(VALU_DEP_1) | instskip(SKIP_1) | instid1(VALU_DEP_1)
	v_fma_f64 v[13:14], v[13:14], v[15:16], v[13:14]
	v_div_scale_f64 v[15:16], vcc_lo, v[9:10], v[7:8], v[9:10]
	v_mul_f64 v[17:18], v[15:16], v[13:14]
	s_delay_alu instid0(VALU_DEP_1) | instskip(NEXT) | instid1(VALU_DEP_1)
	v_fma_f64 v[11:12], -v[11:12], v[17:18], v[15:16]
	v_div_fmas_f64 v[11:12], v[11:12], v[13:14], v[17:18]
	s_delay_alu instid0(VALU_DEP_1)
	v_div_fixup_f64 v[11:12], v[11:12], v[7:8], v[9:10]
.LBB0_14:
	s_or_b32 exec_lo, exec_lo, s0
	s_delay_alu instid0(VALU_DEP_1) | instskip(NEXT) | instid1(VALU_DEP_1)
	v_mul_f64 v[7:8], v[23:24], v[11:12]
	v_fma_f64 v[5:6], v[5:6], v[21:22], v[7:8]
	v_mad_u64_u32 v[7:8], null, 0x138800, v2, s[14:15]
	s_delay_alu instid0(VALU_DEP_1) | instskip(NEXT) | instid1(VALU_DEP_1)
	v_mad_u64_u32 v[1:2], null, 0xc80, v0, v[7:8]
	v_add_co_u32 v0, vcc_lo, v1, v3
	s_delay_alu instid0(VALU_DEP_2)
	v_add_co_ci_u32_e32 v1, vcc_lo, v2, v4, vcc_lo
	global_store_b64 v[0:1], v[5:6], off
	s_nop 0
	s_sendmsg sendmsg(MSG_DEALLOC_VGPRS)
	s_endpgm
	.section	.rodata,"a",@progbits
	.p2align	6, 0x0
	.amdhsa_kernel _Z14calculateForcePA400_A400_dS1_S1_S1_dddddd
		.amdhsa_group_segment_fixed_size 0
		.amdhsa_private_segment_fixed_size 0
		.amdhsa_kernarg_size 336
		.amdhsa_user_sgpr_count 13
		.amdhsa_user_sgpr_dispatch_ptr 0
		.amdhsa_user_sgpr_queue_ptr 0
		.amdhsa_user_sgpr_kernarg_segment_ptr 1
		.amdhsa_user_sgpr_dispatch_id 0
		.amdhsa_user_sgpr_private_segment_size 0
		.amdhsa_wavefront_size32 1
		.amdhsa_uses_dynamic_stack 0
		.amdhsa_enable_private_segment 0
		.amdhsa_system_sgpr_workgroup_id_x 1
		.amdhsa_system_sgpr_workgroup_id_y 1
		.amdhsa_system_sgpr_workgroup_id_z 1
		.amdhsa_system_sgpr_workgroup_info 0
		.amdhsa_system_vgpr_workitem_id 2
		.amdhsa_next_free_vgpr 47
		.amdhsa_next_free_sgpr 24
		.amdhsa_reserve_vcc 1
		.amdhsa_float_round_mode_32 0
		.amdhsa_float_round_mode_16_64 0
		.amdhsa_float_denorm_mode_32 3
		.amdhsa_float_denorm_mode_16_64 3
		.amdhsa_dx10_clamp 1
		.amdhsa_ieee_mode 1
		.amdhsa_fp16_overflow 0
		.amdhsa_workgroup_processor_mode 1
		.amdhsa_memory_ordered 1
		.amdhsa_forward_progress 0
		.amdhsa_shared_vgpr_count 0
		.amdhsa_exception_fp_ieee_invalid_op 0
		.amdhsa_exception_fp_denorm_src 0
		.amdhsa_exception_fp_ieee_div_zero 0
		.amdhsa_exception_fp_ieee_overflow 0
		.amdhsa_exception_fp_ieee_underflow 0
		.amdhsa_exception_fp_ieee_inexact 0
		.amdhsa_exception_int_div_zero 0
	.end_amdhsa_kernel
	.text
.Lfunc_end0:
	.size	_Z14calculateForcePA400_A400_dS1_S1_S1_dddddd, .Lfunc_end0-_Z14calculateForcePA400_A400_dS1_S1_S1_dddddd
                                        ; -- End function
	.section	.AMDGPU.csdata,"",@progbits
; Kernel info:
; codeLenInByte = 2284
; NumSgprs: 26
; NumVgprs: 47
; ScratchSize: 0
; MemoryBound: 0
; FloatMode: 240
; IeeeMode: 1
; LDSByteSize: 0 bytes/workgroup (compile time only)
; SGPRBlocks: 3
; VGPRBlocks: 5
; NumSGPRsForWavesPerEU: 26
; NumVGPRsForWavesPerEU: 47
; Occupancy: 16
; WaveLimiterHint : 0
; COMPUTE_PGM_RSRC2:SCRATCH_EN: 0
; COMPUTE_PGM_RSRC2:USER_SGPR: 13
; COMPUTE_PGM_RSRC2:TRAP_HANDLER: 0
; COMPUTE_PGM_RSRC2:TGID_X_EN: 1
; COMPUTE_PGM_RSRC2:TGID_Y_EN: 1
; COMPUTE_PGM_RSRC2:TGID_Z_EN: 1
; COMPUTE_PGM_RSRC2:TIDIG_COMP_CNT: 2
	.text
	.protected	_Z9allenCahnPA400_A400_dS1_S1_S1_S1_S1_dddddddd ; -- Begin function _Z9allenCahnPA400_A400_dS1_S1_S1_S1_S1_dddddddd
	.globl	_Z9allenCahnPA400_A400_dS1_S1_S1_S1_S1_dddddddd
	.p2align	8
	.type	_Z9allenCahnPA400_A400_dS1_S1_S1_S1_S1_dddddddd,@function
_Z9allenCahnPA400_A400_dS1_S1_S1_S1_S1_dddddddd: ; @_Z9allenCahnPA400_A400_dS1_S1_S1_S1_S1_dddddddd
; %bb.0:
	s_load_b64 s[2:3], s[0:1], 0x7c
	v_bfe_u32 v3, v0, 10, 10
	v_bfe_u32 v4, v0, 20, 10
	v_and_b32_e32 v2, 0x3ff, v0
	s_waitcnt lgkmcnt(0)
	s_lshr_b32 s4, s2, 16
	s_and_b32 s3, s3, 0xffff
	s_and_b32 s2, s2, 0xffff
	v_mad_u64_u32 v[12:13], null, s14, s4, v[3:4]
	v_mad_u64_u32 v[0:1], null, s13, s2, v[2:3]
	;; [unrolled: 1-line block ×3, first 2 shown]
	s_delay_alu instid0(VALU_DEP_3) | instskip(NEXT) | instid1(VALU_DEP_3)
	v_cmp_ne_u32_e64 s2, 0, v12
	v_cmp_ne_u32_e64 s4, 0, v0
	s_delay_alu instid0(VALU_DEP_3) | instskip(SKIP_1) | instid1(VALU_DEP_2)
	v_max3_u32 v1, v0, v12, v13
	v_cmp_ne_u32_e32 vcc_lo, 0, v13
	v_cmp_gt_u32_e64 s3, 0x18f, v1
	s_and_b32 s2, vcc_lo, s2
	s_delay_alu instid0(VALU_DEP_1) | instid1(SALU_CYCLE_1)
	s_and_b32 s2, s2, s3
	s_delay_alu instid0(SALU_CYCLE_1) | instskip(NEXT) | instid1(SALU_CYCLE_1)
	s_and_b32 s2, s4, s2
	s_and_saveexec_b32 s3, s2
	s_cbranch_execz .LBB1_10
; %bb.1:
	s_load_b256 s[4:11], s[0:1], 0x0
	v_dual_mov_b32 v1, 0 :: v_dual_add_nc_u32 v32, -1, v12
	s_load_b128 s[24:27], s[0:1], 0x30
	s_delay_alu instid0(VALU_DEP_1) | instskip(SKIP_1) | instid1(VALU_DEP_1)
	v_lshlrev_b64 v[4:5], 3, v[0:1]
	v_add_nc_u32_e32 v0, -1, v0
	v_lshlrev_b64 v[14:15], 3, v[0:1]
	s_waitcnt lgkmcnt(0)
	v_mad_u64_u32 v[2:3], null, 0x138800, v13, s[6:7]
	s_delay_alu instid0(VALU_DEP_1) | instskip(SKIP_1) | instid1(VALU_DEP_2)
	v_mad_u64_u32 v[6:7], null, 0xc80, v12, v[2:3]
	v_mad_u64_u32 v[8:9], null, 0xc80, v32, v[2:3]
	v_add_co_u32 v0, vcc_lo, v6, v4
	s_delay_alu instid0(VALU_DEP_3) | instskip(NEXT) | instid1(VALU_DEP_2)
	v_add_co_ci_u32_e32 v1, vcc_lo, v7, v5, vcc_lo
	v_add_co_u32 v2, vcc_lo, 0x138000, v0
	s_delay_alu instid0(VALU_DEP_2)
	v_add_co_ci_u32_e32 v3, vcc_lo, 0, v1, vcc_lo
	v_add_co_u32 v10, vcc_lo, 0xffec8000, v0
	v_add_co_ci_u32_e32 v11, vcc_lo, -1, v1, vcc_lo
	v_add_co_u32 v8, vcc_lo, v8, v4
	v_add_co_ci_u32_e32 v9, vcc_lo, v9, v5, vcc_lo
	s_clause 0x1
	global_load_b64 v[16:17], v[2:3], off offset:2048
	global_load_b64 v[10:11], v[10:11], off offset:-2048
	v_add_co_u32 v6, vcc_lo, v6, v14
	v_add_co_ci_u32_e32 v7, vcc_lo, v7, v15, vcc_lo
	s_clause 0x3
	global_load_b64 v[8:9], v[8:9], off
	global_load_b64 v[18:19], v[0:1], off offset:3200
	global_load_b128 v[0:3], v[0:1], off
	global_load_b64 v[20:21], v[6:7], off
	s_clause 0x1
	s_load_b256 s[12:19], s[0:1], 0x40
	s_load_b128 s[20:23], s[0:1], 0x60
	s_waitcnt lgkmcnt(0)
	v_add_f64 v[6:7], s[18:19], s[18:19]
	s_waitcnt vmcnt(4)
	v_add_f64 v[16:17], v[16:17], -v[10:11]
	v_add_f64 v[10:11], s[20:21], s[20:21]
	s_waitcnt vmcnt(2)
	v_add_f64 v[18:19], v[18:19], -v[8:9]
	;; [unrolled: 3-line block ×3, first 2 shown]
	v_div_scale_f64 v[20:21], null, v[6:7], v[6:7], v[16:17]
	v_div_scale_f64 v[39:40], vcc_lo, v[16:17], v[6:7], v[16:17]
	v_div_scale_f64 v[22:23], null, v[10:11], v[10:11], v[18:19]
	s_delay_alu instid0(VALU_DEP_4) | instskip(NEXT) | instid1(VALU_DEP_4)
	v_div_scale_f64 v[24:25], null, v[8:9], v[8:9], v[2:3]
	v_rcp_f64_e32 v[26:27], v[20:21]
	s_delay_alu instid0(VALU_DEP_2) | instskip(NEXT) | instid1(VALU_DEP_1)
	v_rcp_f64_e32 v[28:29], v[22:23]
	v_rcp_f64_e32 v[30:31], v[24:25]
	s_delay_alu instid0(TRANS32_DEP_3) | instskip(SKIP_4) | instid1(VALU_DEP_3)
	v_fma_f64 v[33:34], -v[20:21], v[26:27], 1.0
	s_waitcnt_depctr 0xfff
	v_fma_f64 v[35:36], -v[22:23], v[28:29], 1.0
	v_fma_f64 v[37:38], -v[24:25], v[30:31], 1.0
	v_fma_f64 v[26:27], v[26:27], v[33:34], v[26:27]
	v_fma_f64 v[28:29], v[28:29], v[35:36], v[28:29]
	s_delay_alu instid0(VALU_DEP_3) | instskip(NEXT) | instid1(VALU_DEP_3)
	v_fma_f64 v[30:31], v[30:31], v[37:38], v[30:31]
	v_fma_f64 v[33:34], -v[20:21], v[26:27], 1.0
	s_delay_alu instid0(VALU_DEP_3) | instskip(NEXT) | instid1(VALU_DEP_3)
	v_fma_f64 v[35:36], -v[22:23], v[28:29], 1.0
	v_fma_f64 v[37:38], -v[24:25], v[30:31], 1.0
	s_delay_alu instid0(VALU_DEP_3) | instskip(SKIP_1) | instid1(VALU_DEP_4)
	v_fma_f64 v[26:27], v[26:27], v[33:34], v[26:27]
	v_div_scale_f64 v[33:34], s2, v[18:19], v[10:11], v[18:19]
	v_fma_f64 v[28:29], v[28:29], v[35:36], v[28:29]
	v_div_scale_f64 v[35:36], s3, v[2:3], v[8:9], v[2:3]
	v_fma_f64 v[30:31], v[30:31], v[37:38], v[30:31]
	v_mul_f64 v[37:38], v[39:40], v[26:27]
	s_delay_alu instid0(VALU_DEP_4) | instskip(NEXT) | instid1(VALU_DEP_3)
	v_mul_f64 v[41:42], v[33:34], v[28:29]
	v_mul_f64 v[43:44], v[35:36], v[30:31]
	s_delay_alu instid0(VALU_DEP_3) | instskip(NEXT) | instid1(VALU_DEP_3)
	v_fma_f64 v[20:21], -v[20:21], v[37:38], v[39:40]
	v_fma_f64 v[22:23], -v[22:23], v[41:42], v[33:34]
	s_delay_alu instid0(VALU_DEP_3) | instskip(NEXT) | instid1(VALU_DEP_3)
	v_fma_f64 v[24:25], -v[24:25], v[43:44], v[35:36]
	v_div_fmas_f64 v[20:21], v[20:21], v[26:27], v[37:38]
	s_mov_b32 vcc_lo, s2
	s_delay_alu instid0(VALU_DEP_3) | instskip(SKIP_1) | instid1(VALU_DEP_3)
	v_div_fmas_f64 v[22:23], v[22:23], v[28:29], v[41:42]
	s_mov_b32 vcc_lo, s3
	v_div_fmas_f64 v[24:25], v[24:25], v[30:31], v[43:44]
	s_delay_alu instid0(VALU_DEP_3) | instskip(NEXT) | instid1(VALU_DEP_3)
	v_div_fixup_f64 v[16:17], v[20:21], v[6:7], v[16:17]
	v_div_fixup_f64 v[18:19], v[22:23], v[10:11], v[18:19]
	s_delay_alu instid0(VALU_DEP_3) | instskip(NEXT) | instid1(VALU_DEP_3)
	v_div_fixup_f64 v[20:21], v[24:25], v[8:9], v[2:3]
                                        ; implicit-def: $vgpr2_vgpr3
	v_cmp_eq_f64_e32 vcc_lo, 0, v[16:17]
	s_delay_alu instid0(VALU_DEP_3) | instskip(NEXT) | instid1(VALU_DEP_3)
	v_cmp_eq_f64_e64 s2, 0, v[18:19]
	v_cmp_eq_f64_e64 s3, 0, v[20:21]
	s_delay_alu instid0(VALU_DEP_2)
	s_and_b32 s2, vcc_lo, s2
	s_delay_alu instid0(VALU_DEP_1) | instid1(SALU_CYCLE_1)
	s_and_b32 s2, s2, s3
	s_delay_alu instid0(SALU_CYCLE_1) | instskip(NEXT) | instid1(SALU_CYCLE_1)
	s_and_saveexec_b32 s3, s2
	s_xor_b32 s3, exec_lo, s3
; %bb.2:
	s_mov_b32 s6, 0xaaaaaaab
	s_mov_b32 s7, 0xbffaaaaa
	s_delay_alu instid0(SALU_CYCLE_1)
	v_fma_f64 v[2:3], s[24:25], s[6:7], 1.0
; %bb.3:
	s_or_saveexec_b32 s3, s3
	v_mul_f64 v[30:31], v[18:19], v[18:19]
	v_mul_f64 v[24:25], v[16:17], v[16:17]
	;; [unrolled: 1-line block ×3, first 2 shown]
	v_fma_f64 v[18:19], 0xc0080000, s[24:25], 1.0
	v_mul_f64 v[22:23], s[24:25], 4.0
	s_load_b128 s[20:23], s[0:1], 0x20
	v_mul_f64 v[28:29], v[30:31], v[30:31]
	v_fma_f64 v[30:31], v[16:17], v[16:17], v[30:31]
	s_xor_b32 exec_lo, exec_lo, s3
	s_cbranch_execz .LBB1_5
; %bb.4:
	s_delay_alu instid0(VALU_DEP_2) | instskip(NEXT) | instid1(VALU_DEP_2)
	v_fma_f64 v[2:3], v[24:25], v[24:25], v[28:29]
	v_fma_f64 v[16:17], v[20:21], v[20:21], v[30:31]
	v_div_scale_f64 v[33:34], null, v[18:19], v[18:19], v[22:23]
	v_div_scale_f64 v[45:46], vcc_lo, v[22:23], v[18:19], v[22:23]
	s_delay_alu instid0(VALU_DEP_4) | instskip(NEXT) | instid1(VALU_DEP_4)
	v_fma_f64 v[2:3], v[26:27], v[26:27], v[2:3]
	v_mul_f64 v[16:17], v[16:17], v[16:17]
	s_delay_alu instid0(VALU_DEP_4) | instskip(NEXT) | instid1(VALU_DEP_1)
	v_rcp_f64_e32 v[37:38], v[33:34]
	v_div_scale_f64 v[35:36], null, v[16:17], v[16:17], v[2:3]
	s_waitcnt_depctr 0xfff
	v_fma_f64 v[41:42], -v[33:34], v[37:38], 1.0
	v_rcp_f64_e32 v[39:40], v[35:36]
	s_delay_alu instid0(VALU_DEP_1) | instskip(SKIP_3) | instid1(VALU_DEP_2)
	v_fma_f64 v[37:38], v[37:38], v[41:42], v[37:38]
	s_waitcnt_depctr 0xfff
	v_fma_f64 v[43:44], -v[35:36], v[39:40], 1.0
	v_fma_f64 v[41:42], -v[33:34], v[37:38], 1.0
	v_fma_f64 v[39:40], v[39:40], v[43:44], v[39:40]
	s_delay_alu instid0(VALU_DEP_2) | instskip(SKIP_1) | instid1(VALU_DEP_3)
	v_fma_f64 v[37:38], v[37:38], v[41:42], v[37:38]
	v_div_scale_f64 v[41:42], s0, v[2:3], v[16:17], v[2:3]
	v_fma_f64 v[43:44], -v[35:36], v[39:40], 1.0
	s_delay_alu instid0(VALU_DEP_1) | instskip(NEXT) | instid1(VALU_DEP_4)
	v_fma_f64 v[39:40], v[39:40], v[43:44], v[39:40]
	v_mul_f64 v[43:44], v[45:46], v[37:38]
	s_delay_alu instid0(VALU_DEP_2) | instskip(NEXT) | instid1(VALU_DEP_2)
	v_mul_f64 v[47:48], v[41:42], v[39:40]
	v_fma_f64 v[33:34], -v[33:34], v[43:44], v[45:46]
	s_delay_alu instid0(VALU_DEP_2) | instskip(NEXT) | instid1(VALU_DEP_2)
	v_fma_f64 v[35:36], -v[35:36], v[47:48], v[41:42]
	v_div_fmas_f64 v[33:34], v[33:34], v[37:38], v[43:44]
	s_mov_b32 vcc_lo, s0
	s_delay_alu instid0(VALU_DEP_2) | instskip(NEXT) | instid1(VALU_DEP_2)
	v_div_fmas_f64 v[35:36], v[35:36], v[39:40], v[47:48]
	v_div_fixup_f64 v[33:34], v[33:34], v[18:19], v[22:23]
	s_delay_alu instid0(VALU_DEP_2) | instskip(NEXT) | instid1(VALU_DEP_1)
	v_div_fixup_f64 v[2:3], v[35:36], v[16:17], v[2:3]
	v_fma_f64 v[2:3], v[33:34], v[2:3], 1.0
	s_delay_alu instid0(VALU_DEP_1)
	v_mul_f64 v[2:3], v[18:19], v[2:3]
.LBB1_5:
	s_or_b32 exec_lo, exec_lo, s3
                                        ; implicit-def: $vgpr16_vgpr17
	s_and_saveexec_b32 s0, s2
	s_delay_alu instid0(SALU_CYCLE_1)
	s_xor_b32 s0, exec_lo, s0
	s_cbranch_execz .LBB1_7
; %bb.6:
	s_mov_b32 s2, 0xaaaaaaab
	s_mov_b32 s3, 0xbffaaaaa
                                        ; implicit-def: $vgpr18_vgpr19
                                        ; implicit-def: $vgpr22_vgpr23
                                        ; implicit-def: $vgpr24_vgpr25
                                        ; implicit-def: $vgpr28_vgpr29
                                        ; implicit-def: $vgpr26_vgpr27
                                        ; implicit-def: $vgpr20_vgpr21
                                        ; implicit-def: $vgpr30_vgpr31
	s_delay_alu instid0(SALU_CYCLE_1)
	v_fma_f64 v[16:17], s[24:25], s[2:3], 1.0
	s_and_not1_saveexec_b32 s1, s0
	s_cbranch_execnz .LBB1_8
	s_branch .LBB1_9
.LBB1_7:
	s_and_not1_saveexec_b32 s1, s0
	s_cbranch_execz .LBB1_9
.LBB1_8:
	s_delay_alu instid0(VALU_DEP_2) | instskip(NEXT) | instid1(VALU_DEP_2)
	v_fma_f64 v[16:17], v[24:25], v[24:25], v[28:29]
	v_fma_f64 v[20:21], v[20:21], v[20:21], v[30:31]
	v_div_scale_f64 v[24:25], null, v[18:19], v[18:19], v[22:23]
	v_div_scale_f64 v[37:38], vcc_lo, v[22:23], v[18:19], v[22:23]
	s_delay_alu instid0(VALU_DEP_4) | instskip(NEXT) | instid1(VALU_DEP_4)
	v_fma_f64 v[16:17], v[26:27], v[26:27], v[16:17]
	v_mul_f64 v[20:21], v[20:21], v[20:21]
	s_delay_alu instid0(VALU_DEP_4) | instskip(NEXT) | instid1(VALU_DEP_1)
	v_rcp_f64_e32 v[28:29], v[24:25]
	v_div_scale_f64 v[26:27], null, v[20:21], v[20:21], v[16:17]
	s_waitcnt_depctr 0xfff
	v_fma_f64 v[33:34], -v[24:25], v[28:29], 1.0
	v_rcp_f64_e32 v[30:31], v[26:27]
	s_delay_alu instid0(VALU_DEP_1) | instskip(SKIP_3) | instid1(VALU_DEP_2)
	v_fma_f64 v[28:29], v[28:29], v[33:34], v[28:29]
	s_waitcnt_depctr 0xfff
	v_fma_f64 v[35:36], -v[26:27], v[30:31], 1.0
	v_fma_f64 v[33:34], -v[24:25], v[28:29], 1.0
	v_fma_f64 v[30:31], v[30:31], v[35:36], v[30:31]
	s_delay_alu instid0(VALU_DEP_2) | instskip(SKIP_1) | instid1(VALU_DEP_3)
	v_fma_f64 v[28:29], v[28:29], v[33:34], v[28:29]
	v_div_scale_f64 v[33:34], s0, v[16:17], v[20:21], v[16:17]
	v_fma_f64 v[35:36], -v[26:27], v[30:31], 1.0
	s_delay_alu instid0(VALU_DEP_1) | instskip(NEXT) | instid1(VALU_DEP_4)
	v_fma_f64 v[30:31], v[30:31], v[35:36], v[30:31]
	v_mul_f64 v[35:36], v[37:38], v[28:29]
	s_delay_alu instid0(VALU_DEP_2) | instskip(NEXT) | instid1(VALU_DEP_2)
	v_mul_f64 v[39:40], v[33:34], v[30:31]
	v_fma_f64 v[24:25], -v[24:25], v[35:36], v[37:38]
	s_delay_alu instid0(VALU_DEP_2) | instskip(NEXT) | instid1(VALU_DEP_2)
	v_fma_f64 v[26:27], -v[26:27], v[39:40], v[33:34]
	v_div_fmas_f64 v[24:25], v[24:25], v[28:29], v[35:36]
	s_mov_b32 vcc_lo, s0
	s_delay_alu instid0(VALU_DEP_2) | instskip(NEXT) | instid1(VALU_DEP_2)
	v_div_fmas_f64 v[26:27], v[26:27], v[30:31], v[39:40]
	v_div_fixup_f64 v[22:23], v[24:25], v[18:19], v[22:23]
	s_delay_alu instid0(VALU_DEP_2) | instskip(NEXT) | instid1(VALU_DEP_1)
	v_div_fixup_f64 v[16:17], v[26:27], v[20:21], v[16:17]
	v_fma_f64 v[16:17], v[22:23], v[16:17], 1.0
	s_delay_alu instid0(VALU_DEP_1)
	v_mul_f64 v[16:17], v[18:19], v[16:17]
.LBB1_9:
	s_or_b32 exec_lo, exec_lo, s1
	v_mad_u64_u32 v[18:19], null, 0x138800, v13, 0
	v_mad_u64_u32 v[20:21], null, 0xc80, v12, 0
	s_delay_alu instid0(VALU_DEP_3) | instskip(NEXT) | instid1(VALU_DEP_3)
	v_mul_f64 v[2:3], v[2:3], v[16:17]
	v_add_co_u32 v12, vcc_lo, s10, v18
	s_delay_alu instid0(VALU_DEP_4) | instskip(NEXT) | instid1(VALU_DEP_2)
	v_add_co_ci_u32_e32 v13, vcc_lo, s11, v19, vcc_lo
	v_add_co_u32 v12, vcc_lo, v12, v20
	s_delay_alu instid0(VALU_DEP_2) | instskip(NEXT) | instid1(VALU_DEP_2)
	v_add_co_ci_u32_e32 v13, vcc_lo, v13, v21, vcc_lo
	v_add_co_u32 v26, vcc_lo, v12, v4
	s_delay_alu instid0(VALU_DEP_2)
	v_add_co_ci_u32_e32 v27, vcc_lo, v13, v5, vcc_lo
	s_waitcnt lgkmcnt(0)
	v_add_co_u32 v12, vcc_lo, s20, v18
	v_add_co_ci_u32_e32 v13, vcc_lo, s21, v19, vcc_lo
	v_add_co_u32 v22, vcc_lo, 0x138000, v26
	v_add_co_ci_u32_e32 v23, vcc_lo, 0, v27, vcc_lo
	s_delay_alu instid0(VALU_DEP_4) | instskip(NEXT) | instid1(VALU_DEP_4)
	v_add_co_u32 v28, vcc_lo, v12, v20
	v_mad_u64_u32 v[24:25], null, 0xc80, v32, v[12:13]
	v_add_co_ci_u32_e32 v29, vcc_lo, v13, v21, vcc_lo
	v_add_co_u32 v12, vcc_lo, 0xffec8000, v26
	v_add_co_ci_u32_e32 v13, vcc_lo, -1, v27, vcc_lo
	v_add_co_u32 v26, vcc_lo, v28, v4
	s_delay_alu instid0(VALU_DEP_4)
	v_add_co_ci_u32_e32 v27, vcc_lo, v29, v5, vcc_lo
	v_add_co_u32 v24, vcc_lo, v24, v4
	v_add_co_ci_u32_e32 v25, vcc_lo, v25, v5, vcc_lo
	s_clause 0x1
	global_load_b64 v[22:23], v[22:23], off offset:2048
	global_load_b64 v[12:13], v[12:13], off offset:-2048
	s_clause 0x1
	global_load_b64 v[26:27], v[26:27], off offset:3200
	global_load_b64 v[24:25], v[24:25], off
	v_add_co_u32 v28, vcc_lo, s22, v18
	v_add_co_ci_u32_e32 v29, vcc_lo, s23, v19, vcc_lo
	v_mul_f64 v[2:3], v[2:3], s[12:13]
	s_delay_alu instid0(VALU_DEP_3) | instskip(NEXT) | instid1(VALU_DEP_3)
	v_add_co_u32 v30, vcc_lo, v28, v20
	v_add_co_ci_u32_e32 v31, vcc_lo, v29, v21, vcc_lo
	s_delay_alu instid0(VALU_DEP_2) | instskip(NEXT) | instid1(VALU_DEP_2)
	v_add_co_u32 v28, vcc_lo, v30, v4
	v_add_co_ci_u32_e32 v29, vcc_lo, v31, v5, vcc_lo
	v_add_co_u32 v14, vcc_lo, v30, v14
	v_add_co_ci_u32_e32 v15, vcc_lo, v31, v15, vcc_lo
	s_clause 0x1
	global_load_b64 v[28:29], v[28:29], off offset:8
	global_load_b64 v[14:15], v[14:15], off
	s_waitcnt vmcnt(4)
	v_add_f64 v[12:13], v[22:23], -v[12:13]
	v_div_scale_f64 v[22:23], null, v[2:3], v[2:3], s[16:17]
	s_waitcnt vmcnt(2)
	v_add_f64 v[16:17], v[26:27], -v[24:25]
	s_waitcnt vmcnt(0)
	v_add_f64 v[14:15], v[28:29], -v[14:15]
	v_add_co_u32 v28, vcc_lo, s8, v18
	v_add_co_ci_u32_e32 v29, vcc_lo, s9, v19, vcc_lo
	s_delay_alu instid0(VALU_DEP_2) | instskip(NEXT) | instid1(VALU_DEP_2)
	v_add_co_u32 v28, vcc_lo, v28, v20
	v_add_co_ci_u32_e32 v29, vcc_lo, v29, v21, vcc_lo
	s_delay_alu instid0(VALU_DEP_2) | instskip(NEXT) | instid1(VALU_DEP_2)
	v_add_co_u32 v28, vcc_lo, v28, v4
	v_add_co_ci_u32_e32 v29, vcc_lo, v29, v5, vcc_lo
	v_div_scale_f64 v[24:25], null, v[6:7], v[6:7], v[12:13]
	v_rcp_f64_e32 v[30:31], v[22:23]
	v_div_scale_f64 v[26:27], null, v[10:11], v[10:11], v[16:17]
	global_load_b64 v[28:29], v[28:29], off
	v_div_scale_f64 v[46:47], vcc_lo, s[16:17], v[2:3], s[16:17]
	v_div_scale_f64 v[48:49], s0, v[12:13], v[6:7], v[12:13]
	v_div_scale_f64 v[32:33], null, v[8:9], v[8:9], v[14:15]
	v_div_scale_f64 v[50:51], s2, v[14:15], v[8:9], v[14:15]
	v_rcp_f64_e32 v[34:35], v[24:25]
	v_rcp_f64_e32 v[36:37], v[26:27]
	v_fma_f64 v[38:39], -v[22:23], v[30:31], 1.0
	s_delay_alu instid0(VALU_DEP_3) | instskip(NEXT) | instid1(TRANS32_DEP_3)
	v_rcp_f64_e32 v[40:41], v[32:33]
	v_fma_f64 v[42:43], -v[24:25], v[34:35], 1.0
	s_delay_alu instid0(VALU_DEP_2)
	v_fma_f64 v[30:31], v[30:31], v[38:39], v[30:31]
	s_waitcnt_depctr 0xfff
	v_fma_f64 v[44:45], -v[26:27], v[36:37], 1.0
	v_fma_f64 v[38:39], -v[32:33], v[40:41], 1.0
	v_fma_f64 v[34:35], v[34:35], v[42:43], v[34:35]
	v_fma_f64 v[42:43], -v[22:23], v[30:31], 1.0
	s_delay_alu instid0(VALU_DEP_4) | instskip(NEXT) | instid1(VALU_DEP_4)
	v_fma_f64 v[36:37], v[36:37], v[44:45], v[36:37]
	v_fma_f64 v[38:39], v[40:41], v[38:39], v[40:41]
	s_delay_alu instid0(VALU_DEP_4) | instskip(NEXT) | instid1(VALU_DEP_4)
	v_fma_f64 v[40:41], -v[24:25], v[34:35], 1.0
	v_fma_f64 v[30:31], v[30:31], v[42:43], v[30:31]
	s_delay_alu instid0(VALU_DEP_4) | instskip(NEXT) | instid1(VALU_DEP_4)
	v_fma_f64 v[44:45], -v[26:27], v[36:37], 1.0
	v_fma_f64 v[42:43], -v[32:33], v[38:39], 1.0
	s_delay_alu instid0(VALU_DEP_4) | instskip(SKIP_1) | instid1(VALU_DEP_4)
	v_fma_f64 v[34:35], v[34:35], v[40:41], v[34:35]
	v_div_scale_f64 v[40:41], s1, v[16:17], v[10:11], v[16:17]
	v_fma_f64 v[36:37], v[36:37], v[44:45], v[36:37]
	v_mul_f64 v[44:45], v[46:47], v[30:31]
	v_fma_f64 v[38:39], v[38:39], v[42:43], v[38:39]
	v_mul_f64 v[42:43], v[48:49], v[34:35]
	s_delay_alu instid0(VALU_DEP_4) | instskip(NEXT) | instid1(VALU_DEP_4)
	v_mul_f64 v[52:53], v[40:41], v[36:37]
	v_fma_f64 v[22:23], -v[22:23], v[44:45], v[46:47]
	s_delay_alu instid0(VALU_DEP_4) | instskip(NEXT) | instid1(VALU_DEP_4)
	v_mul_f64 v[46:47], v[50:51], v[38:39]
	v_fma_f64 v[24:25], -v[24:25], v[42:43], v[48:49]
	s_delay_alu instid0(VALU_DEP_4) | instskip(NEXT) | instid1(VALU_DEP_4)
	v_fma_f64 v[26:27], -v[26:27], v[52:53], v[40:41]
	v_div_fmas_f64 v[22:23], v[22:23], v[30:31], v[44:45]
	s_mov_b32 vcc_lo, s0
	s_delay_alu instid0(VALU_DEP_4)
	v_fma_f64 v[30:31], -v[32:33], v[46:47], v[50:51]
	v_fma_f64 v[32:33], -v[0:1], v[0:1], 1.0
	v_div_fmas_f64 v[24:25], v[24:25], v[34:35], v[42:43]
	s_mov_b32 vcc_lo, s1
	v_div_fmas_f64 v[26:27], v[26:27], v[36:37], v[52:53]
	s_mov_b32 vcc_lo, s2
	v_div_fixup_f64 v[2:3], v[22:23], v[2:3], s[16:17]
	v_div_fmas_f64 v[30:31], v[30:31], v[38:39], v[46:47]
	s_delay_alu instid0(VALU_DEP_4)
	v_div_fixup_f64 v[6:7], v[24:25], v[6:7], v[12:13]
	s_waitcnt vmcnt(0)
	v_mul_f64 v[12:13], v[28:29], s[14:15]
	v_div_fixup_f64 v[10:11], v[26:27], v[10:11], v[16:17]
	v_mul_f64 v[16:17], v[0:1], v[32:33]
	v_div_fixup_f64 v[8:9], v[30:31], v[8:9], v[14:15]
	s_delay_alu instid0(VALU_DEP_3) | instskip(SKIP_1) | instid1(VALU_DEP_2)
	v_add_f64 v[6:7], v[6:7], v[10:11]
	v_mul_f64 v[10:11], v[32:33], v[12:13]
	v_add_f64 v[6:7], v[6:7], v[8:9]
	s_delay_alu instid0(VALU_DEP_2) | instskip(NEXT) | instid1(VALU_DEP_1)
	v_fma_f64 v[8:9], v[32:33], v[10:11], -v[16:17]
	v_add_f64 v[6:7], v[6:7], -v[8:9]
	s_delay_alu instid0(VALU_DEP_1) | instskip(SKIP_2) | instid1(VALU_DEP_2)
	v_fma_f64 v[0:1], v[2:3], v[6:7], v[0:1]
	v_add_co_u32 v2, vcc_lo, s4, v18
	v_add_co_ci_u32_e32 v3, vcc_lo, s5, v19, vcc_lo
	v_add_co_u32 v2, vcc_lo, v2, v20
	s_delay_alu instid0(VALU_DEP_2) | instskip(NEXT) | instid1(VALU_DEP_2)
	v_add_co_ci_u32_e32 v3, vcc_lo, v3, v21, vcc_lo
	v_add_co_u32 v2, vcc_lo, v2, v4
	s_delay_alu instid0(VALU_DEP_2)
	v_add_co_ci_u32_e32 v3, vcc_lo, v3, v5, vcc_lo
	global_store_b64 v[2:3], v[0:1], off
.LBB1_10:
	s_nop 0
	s_sendmsg sendmsg(MSG_DEALLOC_VGPRS)
	s_endpgm
	.section	.rodata,"a",@progbits
	.p2align	6, 0x0
	.amdhsa_kernel _Z9allenCahnPA400_A400_dS1_S1_S1_S1_S1_dddddddd
		.amdhsa_group_segment_fixed_size 0
		.amdhsa_private_segment_fixed_size 0
		.amdhsa_kernarg_size 368
		.amdhsa_user_sgpr_count 13
		.amdhsa_user_sgpr_dispatch_ptr 0
		.amdhsa_user_sgpr_queue_ptr 0
		.amdhsa_user_sgpr_kernarg_segment_ptr 1
		.amdhsa_user_sgpr_dispatch_id 0
		.amdhsa_user_sgpr_private_segment_size 0
		.amdhsa_wavefront_size32 1
		.amdhsa_uses_dynamic_stack 0
		.amdhsa_enable_private_segment 0
		.amdhsa_system_sgpr_workgroup_id_x 1
		.amdhsa_system_sgpr_workgroup_id_y 1
		.amdhsa_system_sgpr_workgroup_id_z 1
		.amdhsa_system_sgpr_workgroup_info 0
		.amdhsa_system_vgpr_workitem_id 2
		.amdhsa_next_free_vgpr 54
		.amdhsa_next_free_sgpr 28
		.amdhsa_reserve_vcc 1
		.amdhsa_float_round_mode_32 0
		.amdhsa_float_round_mode_16_64 0
		.amdhsa_float_denorm_mode_32 3
		.amdhsa_float_denorm_mode_16_64 3
		.amdhsa_dx10_clamp 1
		.amdhsa_ieee_mode 1
		.amdhsa_fp16_overflow 0
		.amdhsa_workgroup_processor_mode 1
		.amdhsa_memory_ordered 1
		.amdhsa_forward_progress 0
		.amdhsa_shared_vgpr_count 0
		.amdhsa_exception_fp_ieee_invalid_op 0
		.amdhsa_exception_fp_denorm_src 0
		.amdhsa_exception_fp_ieee_div_zero 0
		.amdhsa_exception_fp_ieee_overflow 0
		.amdhsa_exception_fp_ieee_underflow 0
		.amdhsa_exception_fp_ieee_inexact 0
		.amdhsa_exception_int_div_zero 0
	.end_amdhsa_kernel
	.text
.Lfunc_end1:
	.size	_Z9allenCahnPA400_A400_dS1_S1_S1_S1_S1_dddddddd, .Lfunc_end1-_Z9allenCahnPA400_A400_dS1_S1_S1_S1_S1_dddddddd
                                        ; -- End function
	.section	.AMDGPU.csdata,"",@progbits
; Kernel info:
; codeLenInByte = 2500
; NumSgprs: 30
; NumVgprs: 54
; ScratchSize: 0
; MemoryBound: 0
; FloatMode: 240
; IeeeMode: 1
; LDSByteSize: 0 bytes/workgroup (compile time only)
; SGPRBlocks: 3
; VGPRBlocks: 6
; NumSGPRsForWavesPerEU: 30
; NumVGPRsForWavesPerEU: 54
; Occupancy: 16
; WaveLimiterHint : 0
; COMPUTE_PGM_RSRC2:SCRATCH_EN: 0
; COMPUTE_PGM_RSRC2:USER_SGPR: 13
; COMPUTE_PGM_RSRC2:TRAP_HANDLER: 0
; COMPUTE_PGM_RSRC2:TGID_X_EN: 1
; COMPUTE_PGM_RSRC2:TGID_Y_EN: 1
; COMPUTE_PGM_RSRC2:TGID_Z_EN: 1
; COMPUTE_PGM_RSRC2:TIDIG_COMP_CNT: 2
	.text
	.protected	_Z21boundaryConditionsPhiPA400_A400_d ; -- Begin function _Z21boundaryConditionsPhiPA400_A400_d
	.globl	_Z21boundaryConditionsPhiPA400_A400_d
	.p2align	8
	.type	_Z21boundaryConditionsPhiPA400_A400_d,@function
_Z21boundaryConditionsPhiPA400_A400_d:  ; @_Z21boundaryConditionsPhiPA400_A400_d
; %bb.0:
	s_load_b64 s[2:3], s[0:1], 0x14
	v_and_b32_e32 v1, 0x3ff, v0
	v_bfe_u32 v6, v0, 10, 10
	v_bfe_u32 v0, v0, 20, 10
	s_waitcnt lgkmcnt(0)
	s_and_b32 s3, s3, 0xffff
	s_lshr_b32 s4, s2, 16
	s_and_b32 s2, s2, 0xffff
	v_mad_u64_u32 v[4:5], null, s14, s4, v[6:7]
	v_mad_u64_u32 v[2:3], null, s13, s2, v[1:2]
	;; [unrolled: 1-line block ×3, first 2 shown]
	s_mov_b32 s2, exec_lo
	s_delay_alu instid0(VALU_DEP_1) | instskip(NEXT) | instid1(VALU_DEP_1)
	v_max3_u32 v0, v2, v4, v6
	v_cmpx_gt_u32_e32 0x190, v0
	s_cbranch_execz .LBB2_5
; %bb.1:
	s_load_b64 s[0:1], s[0:1], 0x0
	s_mov_b32 s2, 0
	s_mov_b32 s3, exec_lo
                                        ; implicit-def: $vgpr0_vgpr1
	v_cmpx_lt_i32_e32 0x18e, v6
	s_xor_b32 s3, exec_lo, s3
	s_cbranch_execnz .LBB2_6
; %bb.2:
	s_and_not1_saveexec_b32 s3, s3
	s_cbranch_execnz .LBB2_7
.LBB2_3:
	s_or_b32 exec_lo, exec_lo, s3
	s_delay_alu instid0(SALU_CYCLE_1)
	s_and_b32 exec_lo, exec_lo, s2
	s_cbranch_execz .LBB2_5
.LBB2_4:
	v_dual_mov_b32 v2, 0 :: v_dual_mov_b32 v3, 0xbff00000
	global_store_b64 v[0:1], v[2:3], off
.LBB2_5:
	s_nop 0
	s_sendmsg sendmsg(MSG_DEALLOC_VGPRS)
	s_endpgm
.LBB2_6:
	s_waitcnt lgkmcnt(0)
	s_add_u32 s4, s0, 0x1e70f800
	v_mov_b32_e32 v3, 0
	s_addc_u32 s5, s1, 0
	s_mov_b32 s2, exec_lo
	v_mad_u64_u32 v[0:1], null, 0xc80, v4, s[4:5]
	s_delay_alu instid0(VALU_DEP_2) | instskip(NEXT) | instid1(VALU_DEP_1)
	v_lshlrev_b64 v[2:3], 3, v[2:3]
                                        ; implicit-def: $vgpr4_vgpr5
                                        ; implicit-def: $vgpr6_vgpr7
	v_add_co_u32 v0, vcc_lo, v0, v2
	s_delay_alu instid0(VALU_DEP_2)
	v_add_co_ci_u32_e32 v1, vcc_lo, v1, v3, vcc_lo
                                        ; implicit-def: $vgpr2_vgpr3
	s_and_not1_saveexec_b32 s3, s3
	s_cbranch_execz .LBB2_3
.LBB2_7:
	s_mov_b32 s5, s2
	s_mov_b32 s4, exec_lo
                                        ; implicit-def: $vgpr0_vgpr1
	v_cmpx_ne_u32_e32 0, v6
	s_xor_b32 s4, exec_lo, s4
	s_cbranch_execz .LBB2_23
; %bb.8:
	s_mov_b32 s5, s2
	s_mov_b32 s6, exec_lo
                                        ; implicit-def: $vgpr0_vgpr1
	v_cmpx_lt_i32_e32 0x18e, v4
	s_xor_b32 s6, exec_lo, s6
	s_cbranch_execz .LBB2_10
; %bb.9:
	v_mov_b32_e32 v3, 0
	s_waitcnt lgkmcnt(0)
	v_mad_u64_u32 v[0:1], null, 0x138800, v6, s[0:1]
	s_or_b32 s5, s2, exec_lo
                                        ; implicit-def: $vgpr6_vgpr7
                                        ; implicit-def: $vgpr4_vgpr5
	s_delay_alu instid0(VALU_DEP_2) | instskip(NEXT) | instid1(VALU_DEP_1)
	v_lshlrev_b64 v[2:3], 3, v[2:3]
	v_add_co_u32 v0, vcc_lo, v0, v2
	s_delay_alu instid0(VALU_DEP_2) | instskip(NEXT) | instid1(VALU_DEP_2)
	v_add_co_ci_u32_e32 v1, vcc_lo, v1, v3, vcc_lo
                                        ; implicit-def: $vgpr2_vgpr3
	v_add_co_u32 v0, vcc_lo, 0x137b80, v0
	s_delay_alu instid0(VALU_DEP_2)
	v_add_co_ci_u32_e32 v1, vcc_lo, 0, v1, vcc_lo
.LBB2_10:
	s_and_not1_saveexec_b32 s6, s6
	s_cbranch_execz .LBB2_22
; %bb.11:
	s_mov_b32 s8, s5
	s_mov_b32 s7, exec_lo
                                        ; implicit-def: $vgpr0_vgpr1
	v_cmpx_ne_u32_e32 0, v4
	s_xor_b32 s7, exec_lo, s7
	s_cbranch_execz .LBB2_19
; %bb.12:
	s_mov_b32 s8, s5
	s_mov_b32 s9, exec_lo
                                        ; implicit-def: $vgpr0_vgpr1
	v_cmpx_lt_i32_e32 0x18e, v2
	s_xor_b32 s9, exec_lo, s9
	s_cbranch_execz .LBB2_14
; %bb.13:
	s_waitcnt lgkmcnt(0)
	v_mad_u64_u32 v[0:1], null, 0x138800, v6, s[0:1]
	s_or_b32 s8, s5, exec_lo
                                        ; implicit-def: $vgpr6_vgpr7
	s_delay_alu instid0(VALU_DEP_1) | instskip(NEXT) | instid1(VALU_DEP_1)
	v_mad_u64_u32 v[2:3], null, 0xc80, v4, v[0:1]
                                        ; implicit-def: $vgpr4_vgpr5
	v_add_co_u32 v0, vcc_lo, 0xc78, v2
	s_delay_alu instid0(VALU_DEP_2)
	v_add_co_ci_u32_e32 v1, vcc_lo, 0, v3, vcc_lo
                                        ; implicit-def: $vgpr2_vgpr3
.LBB2_14:
	s_and_not1_saveexec_b32 s9, s9
	s_cbranch_execz .LBB2_18
; %bb.15:
	s_mov_b32 s10, s8
	s_mov_b32 s11, exec_lo
                                        ; implicit-def: $vgpr0_vgpr1
	v_cmpx_eq_u32_e32 0, v2
	s_xor_b32 s11, exec_lo, s11
	s_cbranch_execz .LBB2_17
; %bb.16:
	s_waitcnt lgkmcnt(0)
	v_mad_u64_u32 v[2:3], null, 0x138800, v6, s[0:1]
	s_or_b32 s10, s8, exec_lo
	s_delay_alu instid0(VALU_DEP_1)
	v_mad_u64_u32 v[0:1], null, 0xc80, v4, v[2:3]
.LBB2_17:
	s_or_b32 exec_lo, exec_lo, s11
	s_delay_alu instid0(SALU_CYCLE_1) | instskip(SKIP_1) | instid1(SALU_CYCLE_1)
	s_and_not1_b32 s8, s8, exec_lo
	s_and_b32 s10, s10, exec_lo
	s_or_b32 s8, s8, s10
.LBB2_18:
	s_or_b32 exec_lo, exec_lo, s9
	s_delay_alu instid0(SALU_CYCLE_1) | instskip(SKIP_1) | instid1(SALU_CYCLE_1)
	s_and_not1_b32 s9, s5, exec_lo
	s_and_b32 s8, s8, exec_lo
                                        ; implicit-def: $vgpr6_vgpr7
                                        ; implicit-def: $vgpr2_vgpr3
	s_or_b32 s8, s9, s8
.LBB2_19:
	s_and_not1_saveexec_b32 s7, s7
	s_cbranch_execz .LBB2_21
; %bb.20:
	v_mov_b32_e32 v3, 0
	s_waitcnt lgkmcnt(0)
	v_mad_u64_u32 v[0:1], null, 0x138800, v6, s[0:1]
	s_or_b32 s8, s8, exec_lo
	s_delay_alu instid0(VALU_DEP_2) | instskip(NEXT) | instid1(VALU_DEP_1)
	v_lshlrev_b64 v[2:3], 3, v[2:3]
	v_add_co_u32 v0, vcc_lo, v0, v2
	s_delay_alu instid0(VALU_DEP_2)
	v_add_co_ci_u32_e32 v1, vcc_lo, v1, v3, vcc_lo
.LBB2_21:
	s_or_b32 exec_lo, exec_lo, s7
	s_delay_alu instid0(SALU_CYCLE_1) | instskip(SKIP_1) | instid1(SALU_CYCLE_1)
	s_and_not1_b32 s5, s5, exec_lo
	s_and_b32 s7, s8, exec_lo
	s_or_b32 s5, s5, s7
.LBB2_22:
	s_or_b32 exec_lo, exec_lo, s6
	s_delay_alu instid0(SALU_CYCLE_1) | instskip(SKIP_1) | instid1(SALU_CYCLE_1)
	s_and_not1_b32 s6, s2, exec_lo
	s_and_b32 s5, s5, exec_lo
                                        ; implicit-def: $vgpr2_vgpr3
                                        ; implicit-def: $vgpr4_vgpr5
	s_or_b32 s5, s6, s5
.LBB2_23:
	s_and_not1_saveexec_b32 s4, s4
	s_cbranch_execz .LBB2_25
; %bb.24:
	v_mov_b32_e32 v3, 0
	s_waitcnt lgkmcnt(0)
	v_mad_u64_u32 v[0:1], null, 0xc80, v4, s[0:1]
	s_or_b32 s5, s5, exec_lo
	s_delay_alu instid0(VALU_DEP_2) | instskip(NEXT) | instid1(VALU_DEP_1)
	v_lshlrev_b64 v[2:3], 3, v[2:3]
	v_add_co_u32 v0, vcc_lo, v0, v2
	s_delay_alu instid0(VALU_DEP_2)
	v_add_co_ci_u32_e32 v1, vcc_lo, v1, v3, vcc_lo
.LBB2_25:
	s_or_b32 exec_lo, exec_lo, s4
	s_waitcnt lgkmcnt(0)
	s_and_not1_b32 s0, s2, exec_lo
	s_and_b32 s1, s5, exec_lo
	s_delay_alu instid0(SALU_CYCLE_1) | instskip(SKIP_1) | instid1(SALU_CYCLE_1)
	s_or_b32 s2, s0, s1
	s_or_b32 exec_lo, exec_lo, s3
	s_and_b32 exec_lo, exec_lo, s2
	s_cbranch_execnz .LBB2_4
	s_branch .LBB2_5
	.section	.rodata,"a",@progbits
	.p2align	6, 0x0
	.amdhsa_kernel _Z21boundaryConditionsPhiPA400_A400_d
		.amdhsa_group_segment_fixed_size 0
		.amdhsa_private_segment_fixed_size 0
		.amdhsa_kernarg_size 264
		.amdhsa_user_sgpr_count 13
		.amdhsa_user_sgpr_dispatch_ptr 0
		.amdhsa_user_sgpr_queue_ptr 0
		.amdhsa_user_sgpr_kernarg_segment_ptr 1
		.amdhsa_user_sgpr_dispatch_id 0
		.amdhsa_user_sgpr_private_segment_size 0
		.amdhsa_wavefront_size32 1
		.amdhsa_uses_dynamic_stack 0
		.amdhsa_enable_private_segment 0
		.amdhsa_system_sgpr_workgroup_id_x 1
		.amdhsa_system_sgpr_workgroup_id_y 1
		.amdhsa_system_sgpr_workgroup_id_z 1
		.amdhsa_system_sgpr_workgroup_info 0
		.amdhsa_system_vgpr_workitem_id 2
		.amdhsa_next_free_vgpr 8
		.amdhsa_next_free_sgpr 16
		.amdhsa_reserve_vcc 1
		.amdhsa_float_round_mode_32 0
		.amdhsa_float_round_mode_16_64 0
		.amdhsa_float_denorm_mode_32 3
		.amdhsa_float_denorm_mode_16_64 3
		.amdhsa_dx10_clamp 1
		.amdhsa_ieee_mode 1
		.amdhsa_fp16_overflow 0
		.amdhsa_workgroup_processor_mode 1
		.amdhsa_memory_ordered 1
		.amdhsa_forward_progress 0
		.amdhsa_shared_vgpr_count 0
		.amdhsa_exception_fp_ieee_invalid_op 0
		.amdhsa_exception_fp_denorm_src 0
		.amdhsa_exception_fp_ieee_div_zero 0
		.amdhsa_exception_fp_ieee_overflow 0
		.amdhsa_exception_fp_ieee_underflow 0
		.amdhsa_exception_fp_ieee_inexact 0
		.amdhsa_exception_int_div_zero 0
	.end_amdhsa_kernel
	.text
.Lfunc_end2:
	.size	_Z21boundaryConditionsPhiPA400_A400_d, .Lfunc_end2-_Z21boundaryConditionsPhiPA400_A400_d
                                        ; -- End function
	.section	.AMDGPU.csdata,"",@progbits
; Kernel info:
; codeLenInByte = 796
; NumSgprs: 18
; NumVgprs: 8
; ScratchSize: 0
; MemoryBound: 0
; FloatMode: 240
; IeeeMode: 1
; LDSByteSize: 0 bytes/workgroup (compile time only)
; SGPRBlocks: 2
; VGPRBlocks: 0
; NumSGPRsForWavesPerEU: 18
; NumVGPRsForWavesPerEU: 8
; Occupancy: 16
; WaveLimiterHint : 0
; COMPUTE_PGM_RSRC2:SCRATCH_EN: 0
; COMPUTE_PGM_RSRC2:USER_SGPR: 13
; COMPUTE_PGM_RSRC2:TRAP_HANDLER: 0
; COMPUTE_PGM_RSRC2:TGID_X_EN: 1
; COMPUTE_PGM_RSRC2:TGID_Y_EN: 1
; COMPUTE_PGM_RSRC2:TGID_Z_EN: 1
; COMPUTE_PGM_RSRC2:TIDIG_COMP_CNT: 2
	.text
	.protected	_Z15thermalEquationPA400_A400_dS1_S1_S1_ddddd ; -- Begin function _Z15thermalEquationPA400_A400_dS1_S1_S1_ddddd
	.globl	_Z15thermalEquationPA400_A400_dS1_S1_S1_ddddd
	.p2align	8
	.type	_Z15thermalEquationPA400_A400_dS1_S1_S1_ddddd,@function
_Z15thermalEquationPA400_A400_dS1_S1_S1_ddddd: ; @_Z15thermalEquationPA400_A400_dS1_S1_S1_ddddd
; %bb.0:
	s_load_b64 s[2:3], s[0:1], 0x54
	v_and_b32_e32 v2, 0x3ff, v0
	v_bfe_u32 v4, v0, 10, 10
	v_bfe_u32 v5, v0, 20, 10
	s_waitcnt lgkmcnt(0)
	s_lshr_b32 s4, s2, 16
	s_and_b32 s2, s2, 0xffff
	s_and_b32 s3, s3, 0xffff
	v_mad_u64_u32 v[0:1], null, s13, s2, v[2:3]
	v_mad_u64_u32 v[2:3], null, s14, s4, v[4:5]
	;; [unrolled: 1-line block ×3, first 2 shown]
	s_delay_alu instid0(VALU_DEP_3) | instskip(NEXT) | instid1(VALU_DEP_3)
	v_cmp_ne_u32_e64 s4, 0, v0
	v_cmp_ne_u32_e64 s2, 0, v2
	s_delay_alu instid0(VALU_DEP_3) | instskip(SKIP_1) | instid1(VALU_DEP_2)
	v_max3_u32 v1, v0, v2, v3
	v_cmp_ne_u32_e32 vcc_lo, 0, v3
	v_cmp_gt_u32_e64 s3, 0x18f, v1
	s_delay_alu instid0(VALU_DEP_4)
	s_and_b32 s2, vcc_lo, s2
	s_delay_alu instid0(VALU_DEP_1) | instid1(SALU_CYCLE_1)
	s_and_b32 s2, s2, s3
	s_delay_alu instid0(SALU_CYCLE_1) | instskip(NEXT) | instid1(SALU_CYCLE_1)
	s_and_b32 s2, s4, s2
	s_and_saveexec_b32 s3, s2
	s_cbranch_execz .LBB3_2
; %bb.1:
	s_load_b512 s[4:19], s[0:1], 0x0
	v_mad_u64_u32 v[4:5], null, 0x138800, v3, 0
	v_mad_u64_u32 v[6:7], null, 0xc80, v2, 0
	v_dual_mov_b32 v1, 0 :: v_dual_add_nc_u32 v14, -1, v2
	s_load_b64 s[0:1], s[0:1], 0x40
	s_delay_alu instid0(VALU_DEP_1) | instskip(SKIP_1) | instid1(VALU_DEP_1)
	v_lshlrev_b64 v[10:11], 3, v[0:1]
	v_add_nc_u32_e32 v0, -1, v0
	v_lshlrev_b64 v[0:1], 3, v[0:1]
	s_waitcnt lgkmcnt(0)
	v_add_co_u32 v8, vcc_lo, s6, v4
	v_add_co_ci_u32_e32 v9, vcc_lo, s7, v5, vcc_lo
	s_delay_alu instid0(VALU_DEP_2) | instskip(NEXT) | instid1(VALU_DEP_2)
	v_add_co_u32 v18, vcc_lo, v8, v6
	v_add_co_ci_u32_e32 v19, vcc_lo, v9, v7, vcc_lo
	v_mad_u64_u32 v[12:13], null, 0xc80, v14, v[8:9]
	s_delay_alu instid0(VALU_DEP_3) | instskip(NEXT) | instid1(VALU_DEP_3)
	v_add_co_u32 v2, vcc_lo, v18, v10
	v_add_co_ci_u32_e32 v3, vcc_lo, v19, v11, vcc_lo
	s_delay_alu instid0(VALU_DEP_2) | instskip(NEXT) | instid1(VALU_DEP_2)
	v_add_co_u32 v8, vcc_lo, 0x138000, v2
	v_add_co_ci_u32_e32 v9, vcc_lo, 0, v3, vcc_lo
	v_add_co_u32 v14, vcc_lo, 0xffec8000, v2
	v_add_co_ci_u32_e32 v15, vcc_lo, -1, v3, vcc_lo
	v_add_co_u32 v12, vcc_lo, v12, v10
	v_add_co_ci_u32_e32 v13, vcc_lo, v13, v11, vcc_lo
	s_clause 0x3
	global_load_b64 v[8:9], v[8:9], off offset:2048
	global_load_b64 v[14:15], v[14:15], off offset:-2048
	global_load_b64 v[16:17], v[2:3], off offset:3200
	global_load_b64 v[12:13], v[12:13], off
	v_add_co_u32 v18, vcc_lo, v18, v0
	v_add_co_ci_u32_e32 v19, vcc_lo, v19, v1, vcc_lo
	s_clause 0x1
	global_load_b128 v[0:3], v[2:3], off
	global_load_b64 v[18:19], v[18:19], off
	v_add_co_u32 v30, vcc_lo, s8, v4
	v_add_co_ci_u32_e32 v31, vcc_lo, s9, v5, vcc_lo
	v_add_co_u32 v32, vcc_lo, s10, v4
	v_add_co_ci_u32_e32 v33, vcc_lo, s11, v5, vcc_lo
	s_delay_alu instid0(VALU_DEP_4) | instskip(NEXT) | instid1(VALU_DEP_4)
	v_add_co_u32 v30, vcc_lo, v30, v6
	v_add_co_ci_u32_e32 v31, vcc_lo, v31, v7, vcc_lo
	s_delay_alu instid0(VALU_DEP_4) | instskip(NEXT) | instid1(VALU_DEP_4)
	v_add_co_u32 v32, vcc_lo, v32, v6
	v_add_co_ci_u32_e32 v33, vcc_lo, v33, v7, vcc_lo
	s_delay_alu instid0(VALU_DEP_4) | instskip(NEXT) | instid1(VALU_DEP_4)
	v_add_co_u32 v30, vcc_lo, v30, v10
	v_add_co_ci_u32_e32 v31, vcc_lo, v31, v11, vcc_lo
	s_delay_alu instid0(VALU_DEP_4) | instskip(NEXT) | instid1(VALU_DEP_4)
	v_add_co_u32 v32, vcc_lo, v32, v10
	v_add_co_ci_u32_e32 v33, vcc_lo, v33, v11, vcc_lo
	global_load_b64 v[30:31], v[30:31], off
	global_load_b64 v[32:33], v[32:33], off
	s_waitcnt vmcnt(6)
	v_add_f64 v[8:9], v[8:9], v[14:15]
	v_mul_f64 v[14:15], s[16:17], s[16:17]
	s_waitcnt vmcnt(4)
	v_add_f64 v[12:13], v[16:17], v[12:13]
	v_mul_f64 v[16:17], s[18:19], s[18:19]
	;; [unrolled: 3-line block ×3, first 2 shown]
	v_fma_f64 v[8:9], v[0:1], -2.0, v[8:9]
	v_fma_f64 v[12:13], v[0:1], -2.0, v[12:13]
	s_delay_alu instid0(VALU_DEP_4) | instskip(NEXT) | instid1(VALU_DEP_3)
	v_fma_f64 v[2:3], v[0:1], -2.0, v[2:3]
	v_div_scale_f64 v[20:21], null, v[14:15], v[14:15], v[8:9]
	s_delay_alu instid0(VALU_DEP_3) | instskip(SKIP_4) | instid1(VALU_DEP_4)
	v_div_scale_f64 v[22:23], null, v[16:17], v[16:17], v[12:13]
	v_div_scale_f64 v[40:41], vcc_lo, v[8:9], v[14:15], v[8:9]
	v_div_scale_f64 v[42:43], s0, v[12:13], v[16:17], v[12:13]
	v_div_scale_f64 v[24:25], null, v[18:19], v[18:19], v[2:3]
	v_rcp_f64_e32 v[26:27], v[20:21]
	v_rcp_f64_e32 v[28:29], v[22:23]
	s_delay_alu instid0(VALU_DEP_1) | instskip(NEXT) | instid1(TRANS32_DEP_3)
	v_rcp_f64_e32 v[34:35], v[24:25]
	v_fma_f64 v[36:37], -v[20:21], v[26:27], 1.0
	s_waitcnt_depctr 0xfff
	v_fma_f64 v[38:39], -v[22:23], v[28:29], 1.0
	v_fma_f64 v[26:27], v[26:27], v[36:37], v[26:27]
	v_fma_f64 v[36:37], -v[24:25], v[34:35], 1.0
	s_delay_alu instid0(VALU_DEP_3) | instskip(NEXT) | instid1(VALU_DEP_3)
	v_fma_f64 v[28:29], v[28:29], v[38:39], v[28:29]
	v_fma_f64 v[38:39], -v[20:21], v[26:27], 1.0
	s_delay_alu instid0(VALU_DEP_3) | instskip(NEXT) | instid1(VALU_DEP_3)
	;; [unrolled: 3-line block ×3, first 2 shown]
	v_fma_f64 v[26:27], v[26:27], v[38:39], v[26:27]
	v_fma_f64 v[38:39], -v[24:25], v[34:35], 1.0
	s_delay_alu instid0(VALU_DEP_3) | instskip(SKIP_1) | instid1(VALU_DEP_4)
	v_fma_f64 v[28:29], v[28:29], v[36:37], v[28:29]
	v_div_scale_f64 v[36:37], s1, v[2:3], v[18:19], v[2:3]
	v_mul_f64 v[44:45], v[40:41], v[26:27]
	s_delay_alu instid0(VALU_DEP_4) | instskip(NEXT) | instid1(VALU_DEP_4)
	v_fma_f64 v[34:35], v[34:35], v[38:39], v[34:35]
	v_mul_f64 v[38:39], v[42:43], v[28:29]
	s_delay_alu instid0(VALU_DEP_3) | instskip(NEXT) | instid1(VALU_DEP_3)
	v_fma_f64 v[20:21], -v[20:21], v[44:45], v[40:41]
	v_mul_f64 v[40:41], v[36:37], v[34:35]
	s_delay_alu instid0(VALU_DEP_3) | instskip(NEXT) | instid1(VALU_DEP_3)
	v_fma_f64 v[22:23], -v[22:23], v[38:39], v[42:43]
	v_div_fmas_f64 v[20:21], v[20:21], v[26:27], v[44:45]
	s_mov_b32 vcc_lo, s0
	s_delay_alu instid0(VALU_DEP_3) | instskip(NEXT) | instid1(VALU_DEP_3)
	v_fma_f64 v[24:25], -v[24:25], v[40:41], v[36:37]
	v_div_fmas_f64 v[22:23], v[22:23], v[28:29], v[38:39]
	s_mov_b32 vcc_lo, s1
	s_delay_alu instid0(VALU_DEP_3) | instskip(NEXT) | instid1(VALU_DEP_3)
	v_div_fixup_f64 v[8:9], v[20:21], v[14:15], v[8:9]
	v_div_fmas_f64 v[14:15], v[24:25], v[34:35], v[40:41]
	s_delay_alu instid0(VALU_DEP_3) | instskip(SKIP_2) | instid1(VALU_DEP_3)
	v_div_fixup_f64 v[12:13], v[22:23], v[16:17], v[12:13]
	s_waitcnt vmcnt(0)
	v_add_f64 v[16:17], v[30:31], -v[32:33]
	v_div_fixup_f64 v[2:3], v[14:15], v[18:19], v[2:3]
	s_delay_alu instid0(VALU_DEP_3) | instskip(NEXT) | instid1(VALU_DEP_3)
	v_add_f64 v[8:9], v[8:9], v[12:13]
	v_fma_f64 v[0:1], v[16:17], 0.5, v[0:1]
	v_mul_f64 v[12:13], s[12:13], s[14:15]
	s_delay_alu instid0(VALU_DEP_3) | instskip(NEXT) | instid1(VALU_DEP_1)
	v_add_f64 v[2:3], v[8:9], v[2:3]
	v_fma_f64 v[0:1], v[12:13], v[2:3], v[0:1]
	v_add_co_u32 v2, vcc_lo, s4, v4
	v_add_co_ci_u32_e32 v3, vcc_lo, s5, v5, vcc_lo
	s_delay_alu instid0(VALU_DEP_2) | instskip(NEXT) | instid1(VALU_DEP_2)
	v_add_co_u32 v2, vcc_lo, v2, v6
	v_add_co_ci_u32_e32 v3, vcc_lo, v3, v7, vcc_lo
	s_delay_alu instid0(VALU_DEP_2) | instskip(NEXT) | instid1(VALU_DEP_2)
	v_add_co_u32 v2, vcc_lo, v2, v10
	v_add_co_ci_u32_e32 v3, vcc_lo, v3, v11, vcc_lo
	global_store_b64 v[2:3], v[0:1], off
.LBB3_2:
	s_nop 0
	s_sendmsg sendmsg(MSG_DEALLOC_VGPRS)
	s_endpgm
	.section	.rodata,"a",@progbits
	.p2align	6, 0x0
	.amdhsa_kernel _Z15thermalEquationPA400_A400_dS1_S1_S1_ddddd
		.amdhsa_group_segment_fixed_size 0
		.amdhsa_private_segment_fixed_size 0
		.amdhsa_kernarg_size 328
		.amdhsa_user_sgpr_count 13
		.amdhsa_user_sgpr_dispatch_ptr 0
		.amdhsa_user_sgpr_queue_ptr 0
		.amdhsa_user_sgpr_kernarg_segment_ptr 1
		.amdhsa_user_sgpr_dispatch_id 0
		.amdhsa_user_sgpr_private_segment_size 0
		.amdhsa_wavefront_size32 1
		.amdhsa_uses_dynamic_stack 0
		.amdhsa_enable_private_segment 0
		.amdhsa_system_sgpr_workgroup_id_x 1
		.amdhsa_system_sgpr_workgroup_id_y 1
		.amdhsa_system_sgpr_workgroup_id_z 1
		.amdhsa_system_sgpr_workgroup_info 0
		.amdhsa_system_vgpr_workitem_id 2
		.amdhsa_next_free_vgpr 46
		.amdhsa_next_free_sgpr 20
		.amdhsa_reserve_vcc 1
		.amdhsa_float_round_mode_32 0
		.amdhsa_float_round_mode_16_64 0
		.amdhsa_float_denorm_mode_32 3
		.amdhsa_float_denorm_mode_16_64 3
		.amdhsa_dx10_clamp 1
		.amdhsa_ieee_mode 1
		.amdhsa_fp16_overflow 0
		.amdhsa_workgroup_processor_mode 1
		.amdhsa_memory_ordered 1
		.amdhsa_forward_progress 0
		.amdhsa_shared_vgpr_count 0
		.amdhsa_exception_fp_ieee_invalid_op 0
		.amdhsa_exception_fp_denorm_src 0
		.amdhsa_exception_fp_ieee_div_zero 0
		.amdhsa_exception_fp_ieee_overflow 0
		.amdhsa_exception_fp_ieee_underflow 0
		.amdhsa_exception_fp_ieee_inexact 0
		.amdhsa_exception_int_div_zero 0
	.end_amdhsa_kernel
	.text
.Lfunc_end3:
	.size	_Z15thermalEquationPA400_A400_dS1_S1_S1_ddddd, .Lfunc_end3-_Z15thermalEquationPA400_A400_dS1_S1_S1_ddddd
                                        ; -- End function
	.section	.AMDGPU.csdata,"",@progbits
; Kernel info:
; codeLenInByte = 1036
; NumSgprs: 22
; NumVgprs: 46
; ScratchSize: 0
; MemoryBound: 0
; FloatMode: 240
; IeeeMode: 1
; LDSByteSize: 0 bytes/workgroup (compile time only)
; SGPRBlocks: 2
; VGPRBlocks: 5
; NumSGPRsForWavesPerEU: 22
; NumVGPRsForWavesPerEU: 46
; Occupancy: 16
; WaveLimiterHint : 0
; COMPUTE_PGM_RSRC2:SCRATCH_EN: 0
; COMPUTE_PGM_RSRC2:USER_SGPR: 13
; COMPUTE_PGM_RSRC2:TRAP_HANDLER: 0
; COMPUTE_PGM_RSRC2:TGID_X_EN: 1
; COMPUTE_PGM_RSRC2:TGID_Y_EN: 1
; COMPUTE_PGM_RSRC2:TGID_Z_EN: 1
; COMPUTE_PGM_RSRC2:TIDIG_COMP_CNT: 2
	.text
	.protected	_Z19boundaryConditionsUPA400_A400_dd ; -- Begin function _Z19boundaryConditionsUPA400_A400_dd
	.globl	_Z19boundaryConditionsUPA400_A400_dd
	.p2align	8
	.type	_Z19boundaryConditionsUPA400_A400_dd,@function
_Z19boundaryConditionsUPA400_A400_dd:   ; @_Z19boundaryConditionsUPA400_A400_dd
; %bb.0:
	s_load_b64 s[2:3], s[0:1], 0x1c
	v_and_b32_e32 v2, 0x3ff, v0
	v_bfe_u32 v4, v0, 10, 10
	v_bfe_u32 v6, v0, 20, 10
	s_waitcnt lgkmcnt(0)
	s_and_b32 s3, s3, 0xffff
	s_lshr_b32 s4, s2, 16
	s_and_b32 s2, s2, 0xffff
	s_delay_alu instid0(SALU_CYCLE_1) | instskip(SKIP_3) | instid1(VALU_DEP_1)
	v_mad_u64_u32 v[0:1], null, s13, s2, v[2:3]
	v_mad_u64_u32 v[2:3], null, s14, s4, v[4:5]
	;; [unrolled: 1-line block ×3, first 2 shown]
	s_mov_b32 s2, exec_lo
	v_max3_u32 v1, v0, v2, v4
	s_delay_alu instid0(VALU_DEP_1)
	v_cmpx_gt_u32_e32 0x190, v1
	s_cbranch_execz .LBB4_22
; %bb.1:
	s_load_b128 s[0:3], s[0:1], 0x0
	s_mov_b32 s4, exec_lo
	v_cmpx_lt_i32_e32 0x18e, v4
	s_xor_b32 s4, exec_lo, s4
	s_cbranch_execz .LBB4_3
; %bb.2:
	s_waitcnt lgkmcnt(0)
	s_xor_b32 s5, s3, 0x80000000
	s_add_u32 s6, s0, 0x1e70f800
	v_dual_mov_b32 v1, 0 :: v_dual_mov_b32 v6, s5
	s_addc_u32 s7, s1, 0
	v_mov_b32_e32 v5, s2
	v_mad_u64_u32 v[3:4], null, 0xc80, v2, s[6:7]
	s_delay_alu instid0(VALU_DEP_3) | instskip(NEXT) | instid1(VALU_DEP_1)
	v_lshlrev_b64 v[0:1], 3, v[0:1]
	v_add_co_u32 v0, vcc_lo, v3, v0
	s_delay_alu instid0(VALU_DEP_2)
	v_add_co_ci_u32_e32 v1, vcc_lo, v4, v1, vcc_lo
                                        ; implicit-def: $vgpr2_vgpr3
	global_store_b64 v[0:1], v[5:6], off
                                        ; implicit-def: $vgpr0_vgpr1
                                        ; implicit-def: $vgpr4_vgpr5
.LBB4_3:
	s_and_not1_saveexec_b32 s4, s4
	s_cbranch_execz .LBB4_22
; %bb.4:
	s_mov_b32 s4, exec_lo
	v_cmpx_ne_u32_e32 0, v4
	s_xor_b32 s4, exec_lo, s4
	s_cbranch_execz .LBB4_20
; %bb.5:
	s_mov_b32 s5, exec_lo
	v_cmpx_lt_i32_e32 0x18e, v2
	s_xor_b32 s5, exec_lo, s5
	s_cbranch_execz .LBB4_7
; %bb.6:
	v_mov_b32_e32 v1, 0
	s_waitcnt lgkmcnt(0)
	v_mad_u64_u32 v[2:3], null, 0x138800, v4, s[0:1]
	v_mov_b32_e32 v4, s2
	s_xor_b32 s6, s3, 0x80000000
	v_lshlrev_b64 v[0:1], 3, v[0:1]
	v_mov_b32_e32 v5, s6
	s_delay_alu instid0(VALU_DEP_2) | instskip(NEXT) | instid1(VALU_DEP_3)
	v_add_co_u32 v0, vcc_lo, v2, v0
	v_add_co_ci_u32_e32 v1, vcc_lo, v3, v1, vcc_lo
                                        ; implicit-def: $vgpr2_vgpr3
	s_delay_alu instid0(VALU_DEP_2) | instskip(NEXT) | instid1(VALU_DEP_2)
	v_add_co_u32 v0, vcc_lo, 0x137000, v0
	v_add_co_ci_u32_e32 v1, vcc_lo, 0, v1, vcc_lo
	global_store_b64 v[0:1], v[4:5], off offset:2944
                                        ; implicit-def: $vgpr4_vgpr5
                                        ; implicit-def: $vgpr0_vgpr1
.LBB4_7:
	s_and_not1_saveexec_b32 s5, s5
	s_cbranch_execz .LBB4_19
; %bb.8:
	s_mov_b32 s6, exec_lo
	v_cmpx_ne_u32_e32 0, v2
	s_xor_b32 s6, exec_lo, s6
	s_cbranch_execz .LBB4_16
; %bb.9:
	s_mov_b32 s7, exec_lo
	v_cmpx_lt_i32_e32 0x18e, v0
	s_xor_b32 s7, exec_lo, s7
	s_cbranch_execz .LBB4_11
; %bb.10:
	s_waitcnt lgkmcnt(0)
	v_mad_u64_u32 v[0:1], null, 0x138800, v4, s[0:1]
	s_xor_b32 s8, s3, 0x80000000
	s_delay_alu instid0(VALU_DEP_1)
	v_mad_u64_u32 v[3:4], null, 0xc80, v2, v[0:1]
	v_dual_mov_b32 v0, s2 :: v_dual_mov_b32 v1, s8
	global_store_b64 v[3:4], v[0:1], off offset:3192
                                        ; implicit-def: $vgpr0_vgpr1
                                        ; implicit-def: $vgpr4_vgpr5
                                        ; implicit-def: $vgpr2_vgpr3
.LBB4_11:
	s_and_not1_saveexec_b32 s7, s7
	s_cbranch_execz .LBB4_15
; %bb.12:
	s_mov_b32 s8, exec_lo
	v_cmpx_eq_u32_e32 0, v0
	s_cbranch_execz .LBB4_14
; %bb.13:
	s_waitcnt lgkmcnt(0)
	v_mad_u64_u32 v[0:1], null, 0x138800, v4, s[0:1]
	s_xor_b32 s9, s3, 0x80000000
	s_delay_alu instid0(VALU_DEP_1)
	v_mad_u64_u32 v[3:4], null, 0xc80, v2, v[0:1]
	v_dual_mov_b32 v0, s2 :: v_dual_mov_b32 v1, s9
	global_store_b64 v[3:4], v[0:1], off
.LBB4_14:
	s_or_b32 exec_lo, exec_lo, s8
.LBB4_15:
	s_delay_alu instid0(SALU_CYCLE_1)
	s_or_b32 exec_lo, exec_lo, s7
                                        ; implicit-def: $vgpr4_vgpr5
                                        ; implicit-def: $vgpr0_vgpr1
.LBB4_16:
	s_and_not1_saveexec_b32 s6, s6
	s_cbranch_execz .LBB4_18
; %bb.17:
	v_mov_b32_e32 v1, 0
	s_waitcnt lgkmcnt(0)
	v_mad_u64_u32 v[2:3], null, 0x138800, v4, s[0:1]
	v_mov_b32_e32 v4, s2
	s_xor_b32 s7, s3, 0x80000000
	v_lshlrev_b64 v[0:1], 3, v[0:1]
	v_mov_b32_e32 v5, s7
	s_delay_alu instid0(VALU_DEP_2) | instskip(NEXT) | instid1(VALU_DEP_3)
	v_add_co_u32 v0, vcc_lo, v2, v0
	v_add_co_ci_u32_e32 v1, vcc_lo, v3, v1, vcc_lo
	global_store_b64 v[0:1], v[4:5], off
.LBB4_18:
	s_or_b32 exec_lo, exec_lo, s6
.LBB4_19:
	s_delay_alu instid0(SALU_CYCLE_1)
	s_or_b32 exec_lo, exec_lo, s5
                                        ; implicit-def: $vgpr0_vgpr1
                                        ; implicit-def: $vgpr2_vgpr3
.LBB4_20:
	s_and_not1_saveexec_b32 s4, s4
	s_cbranch_execz .LBB4_22
; %bb.21:
	s_waitcnt lgkmcnt(0)
	v_mad_u64_u32 v[3:4], null, 0xc80, v2, s[0:1]
	s_xor_b32 s0, s3, 0x80000000
	s_delay_alu instid0(SALU_CYCLE_1) | instskip(SKIP_1) | instid1(VALU_DEP_2)
	v_dual_mov_b32 v1, 0 :: v_dual_mov_b32 v6, s0
	v_mov_b32_e32 v5, s2
	v_lshlrev_b64 v[0:1], 3, v[0:1]
	s_delay_alu instid0(VALU_DEP_1) | instskip(NEXT) | instid1(VALU_DEP_2)
	v_add_co_u32 v0, vcc_lo, v3, v0
	v_add_co_ci_u32_e32 v1, vcc_lo, v4, v1, vcc_lo
	global_store_b64 v[0:1], v[5:6], off
.LBB4_22:
	s_nop 0
	s_sendmsg sendmsg(MSG_DEALLOC_VGPRS)
	s_endpgm
	.section	.rodata,"a",@progbits
	.p2align	6, 0x0
	.amdhsa_kernel _Z19boundaryConditionsUPA400_A400_dd
		.amdhsa_group_segment_fixed_size 0
		.amdhsa_private_segment_fixed_size 0
		.amdhsa_kernarg_size 272
		.amdhsa_user_sgpr_count 13
		.amdhsa_user_sgpr_dispatch_ptr 0
		.amdhsa_user_sgpr_queue_ptr 0
		.amdhsa_user_sgpr_kernarg_segment_ptr 1
		.amdhsa_user_sgpr_dispatch_id 0
		.amdhsa_user_sgpr_private_segment_size 0
		.amdhsa_wavefront_size32 1
		.amdhsa_uses_dynamic_stack 0
		.amdhsa_enable_private_segment 0
		.amdhsa_system_sgpr_workgroup_id_x 1
		.amdhsa_system_sgpr_workgroup_id_y 1
		.amdhsa_system_sgpr_workgroup_id_z 1
		.amdhsa_system_sgpr_workgroup_info 0
		.amdhsa_system_vgpr_workitem_id 2
		.amdhsa_next_free_vgpr 8
		.amdhsa_next_free_sgpr 16
		.amdhsa_reserve_vcc 1
		.amdhsa_float_round_mode_32 0
		.amdhsa_float_round_mode_16_64 0
		.amdhsa_float_denorm_mode_32 3
		.amdhsa_float_denorm_mode_16_64 3
		.amdhsa_dx10_clamp 1
		.amdhsa_ieee_mode 1
		.amdhsa_fp16_overflow 0
		.amdhsa_workgroup_processor_mode 1
		.amdhsa_memory_ordered 1
		.amdhsa_forward_progress 0
		.amdhsa_shared_vgpr_count 0
		.amdhsa_exception_fp_ieee_invalid_op 0
		.amdhsa_exception_fp_denorm_src 0
		.amdhsa_exception_fp_ieee_div_zero 0
		.amdhsa_exception_fp_ieee_overflow 0
		.amdhsa_exception_fp_ieee_underflow 0
		.amdhsa_exception_fp_ieee_inexact 0
		.amdhsa_exception_int_div_zero 0
	.end_amdhsa_kernel
	.text
.Lfunc_end4:
	.size	_Z19boundaryConditionsUPA400_A400_dd, .Lfunc_end4-_Z19boundaryConditionsUPA400_A400_dd
                                        ; -- End function
	.section	.AMDGPU.csdata,"",@progbits
; Kernel info:
; codeLenInByte = 724
; NumSgprs: 18
; NumVgprs: 8
; ScratchSize: 0
; MemoryBound: 0
; FloatMode: 240
; IeeeMode: 1
; LDSByteSize: 0 bytes/workgroup (compile time only)
; SGPRBlocks: 2
; VGPRBlocks: 0
; NumSGPRsForWavesPerEU: 18
; NumVGPRsForWavesPerEU: 8
; Occupancy: 16
; WaveLimiterHint : 0
; COMPUTE_PGM_RSRC2:SCRATCH_EN: 0
; COMPUTE_PGM_RSRC2:USER_SGPR: 13
; COMPUTE_PGM_RSRC2:TRAP_HANDLER: 0
; COMPUTE_PGM_RSRC2:TGID_X_EN: 1
; COMPUTE_PGM_RSRC2:TGID_Y_EN: 1
; COMPUTE_PGM_RSRC2:TGID_Z_EN: 1
; COMPUTE_PGM_RSRC2:TIDIG_COMP_CNT: 2
	.text
	.protected	_Z8swapGridPA400_A400_dS1_ ; -- Begin function _Z8swapGridPA400_A400_dS1_
	.globl	_Z8swapGridPA400_A400_dS1_
	.p2align	8
	.type	_Z8swapGridPA400_A400_dS1_,@function
_Z8swapGridPA400_A400_dS1_:             ; @_Z8swapGridPA400_A400_dS1_
; %bb.0:
	s_load_b64 s[2:3], s[0:1], 0x1c
	v_and_b32_e32 v1, 0x3ff, v0
	v_bfe_u32 v4, v0, 10, 10
	v_bfe_u32 v5, v0, 20, 10
	s_waitcnt lgkmcnt(0)
	s_lshr_b32 s4, s2, 16
	s_and_b32 s2, s2, 0xffff
	s_and_b32 s3, s3, 0xffff
	v_mad_u64_u32 v[2:3], null, s13, s2, v[1:2]
	v_mad_u64_u32 v[0:1], null, s14, s4, v[4:5]
	;; [unrolled: 1-line block ×3, first 2 shown]
	s_mov_b32 s2, exec_lo
	s_delay_alu instid0(VALU_DEP_1) | instskip(NEXT) | instid1(VALU_DEP_1)
	v_max3_u32 v1, v2, v0, v3
	v_cmpx_gt_u32_e32 0x190, v1
	s_cbranch_execz .LBB5_2
; %bb.1:
	s_load_b128 s[0:3], s[0:1], 0x0
	s_waitcnt lgkmcnt(0)
	v_mad_u64_u32 v[4:5], null, 0x138800, v3, s[2:3]
	v_mad_u64_u32 v[6:7], null, 0x138800, v3, s[0:1]
	v_mov_b32_e32 v3, 0
	s_delay_alu instid0(VALU_DEP_3) | instskip(NEXT) | instid1(VALU_DEP_2)
	v_mad_u64_u32 v[8:9], null, 0xc80, v0, v[4:5]
	v_lshlrev_b64 v[1:2], 3, v[2:3]
	s_delay_alu instid0(VALU_DEP_4) | instskip(NEXT) | instid1(VALU_DEP_2)
	v_mad_u64_u32 v[3:4], null, 0xc80, v0, v[6:7]
	v_add_co_u32 v5, vcc_lo, v8, v1
	s_delay_alu instid0(VALU_DEP_3) | instskip(NEXT) | instid1(VALU_DEP_3)
	v_add_co_ci_u32_e32 v6, vcc_lo, v9, v2, vcc_lo
	v_add_co_u32 v0, vcc_lo, v3, v1
	s_delay_alu instid0(VALU_DEP_4)
	v_add_co_ci_u32_e32 v1, vcc_lo, v4, v2, vcc_lo
	global_load_b64 v[2:3], v[5:6], off
	global_load_b64 v[7:8], v[0:1], off
	s_waitcnt vmcnt(1)
	global_store_b64 v[0:1], v[2:3], off
	s_waitcnt vmcnt(0)
	global_store_b64 v[5:6], v[7:8], off
.LBB5_2:
	s_nop 0
	s_sendmsg sendmsg(MSG_DEALLOC_VGPRS)
	s_endpgm
	.section	.rodata,"a",@progbits
	.p2align	6, 0x0
	.amdhsa_kernel _Z8swapGridPA400_A400_dS1_
		.amdhsa_group_segment_fixed_size 0
		.amdhsa_private_segment_fixed_size 0
		.amdhsa_kernarg_size 272
		.amdhsa_user_sgpr_count 13
		.amdhsa_user_sgpr_dispatch_ptr 0
		.amdhsa_user_sgpr_queue_ptr 0
		.amdhsa_user_sgpr_kernarg_segment_ptr 1
		.amdhsa_user_sgpr_dispatch_id 0
		.amdhsa_user_sgpr_private_segment_size 0
		.amdhsa_wavefront_size32 1
		.amdhsa_uses_dynamic_stack 0
		.amdhsa_enable_private_segment 0
		.amdhsa_system_sgpr_workgroup_id_x 1
		.amdhsa_system_sgpr_workgroup_id_y 1
		.amdhsa_system_sgpr_workgroup_id_z 1
		.amdhsa_system_sgpr_workgroup_info 0
		.amdhsa_system_vgpr_workitem_id 2
		.amdhsa_next_free_vgpr 10
		.amdhsa_next_free_sgpr 16
		.amdhsa_reserve_vcc 1
		.amdhsa_float_round_mode_32 0
		.amdhsa_float_round_mode_16_64 0
		.amdhsa_float_denorm_mode_32 3
		.amdhsa_float_denorm_mode_16_64 3
		.amdhsa_dx10_clamp 1
		.amdhsa_ieee_mode 1
		.amdhsa_fp16_overflow 0
		.amdhsa_workgroup_processor_mode 1
		.amdhsa_memory_ordered 1
		.amdhsa_forward_progress 0
		.amdhsa_shared_vgpr_count 0
		.amdhsa_exception_fp_ieee_invalid_op 0
		.amdhsa_exception_fp_denorm_src 0
		.amdhsa_exception_fp_ieee_div_zero 0
		.amdhsa_exception_fp_ieee_overflow 0
		.amdhsa_exception_fp_ieee_underflow 0
		.amdhsa_exception_fp_ieee_inexact 0
		.amdhsa_exception_int_div_zero 0
	.end_amdhsa_kernel
	.text
.Lfunc_end5:
	.size	_Z8swapGridPA400_A400_dS1_, .Lfunc_end5-_Z8swapGridPA400_A400_dS1_
                                        ; -- End function
	.section	.AMDGPU.csdata,"",@progbits
; Kernel info:
; codeLenInByte = 272
; NumSgprs: 18
; NumVgprs: 10
; ScratchSize: 0
; MemoryBound: 0
; FloatMode: 240
; IeeeMode: 1
; LDSByteSize: 0 bytes/workgroup (compile time only)
; SGPRBlocks: 2
; VGPRBlocks: 1
; NumSGPRsForWavesPerEU: 18
; NumVGPRsForWavesPerEU: 10
; Occupancy: 16
; WaveLimiterHint : 0
; COMPUTE_PGM_RSRC2:SCRATCH_EN: 0
; COMPUTE_PGM_RSRC2:USER_SGPR: 13
; COMPUTE_PGM_RSRC2:TRAP_HANDLER: 0
; COMPUTE_PGM_RSRC2:TGID_X_EN: 1
; COMPUTE_PGM_RSRC2:TGID_Y_EN: 1
; COMPUTE_PGM_RSRC2:TGID_Z_EN: 1
; COMPUTE_PGM_RSRC2:TIDIG_COMP_CNT: 2
	.text
	.p2alignl 7, 3214868480
	.fill 96, 4, 3214868480
	.type	__hip_cuid_4fbbc5961afa341a,@object ; @__hip_cuid_4fbbc5961afa341a
	.section	.bss,"aw",@nobits
	.globl	__hip_cuid_4fbbc5961afa341a
__hip_cuid_4fbbc5961afa341a:
	.byte	0                               ; 0x0
	.size	__hip_cuid_4fbbc5961afa341a, 1

	.ident	"AMD clang version 19.0.0git (https://github.com/RadeonOpenCompute/llvm-project roc-6.4.0 25133 c7fe45cf4b819c5991fe208aaa96edf142730f1d)"
	.section	".note.GNU-stack","",@progbits
	.addrsig
	.addrsig_sym __hip_cuid_4fbbc5961afa341a
	.amdgpu_metadata
---
amdhsa.kernels:
  - .args:
      - .address_space:  global
        .offset:         0
        .size:           8
        .value_kind:     global_buffer
      - .address_space:  global
        .offset:         8
        .size:           8
        .value_kind:     global_buffer
      - .address_space:  global
        .offset:         16
        .size:           8
        .value_kind:     global_buffer
      - .address_space:  global
        .offset:         24
        .size:           8
        .value_kind:     global_buffer
      - .offset:         32
        .size:           8
        .value_kind:     by_value
      - .offset:         40
        .size:           8
        .value_kind:     by_value
      - .offset:         48
        .size:           8
        .value_kind:     by_value
      - .offset:         56
        .size:           8
        .value_kind:     by_value
      - .offset:         64
        .size:           8
        .value_kind:     by_value
      - .offset:         72
        .size:           8
        .value_kind:     by_value
      - .offset:         80
        .size:           4
        .value_kind:     hidden_block_count_x
      - .offset:         84
        .size:           4
        .value_kind:     hidden_block_count_y
      - .offset:         88
        .size:           4
        .value_kind:     hidden_block_count_z
      - .offset:         92
        .size:           2
        .value_kind:     hidden_group_size_x
      - .offset:         94
        .size:           2
        .value_kind:     hidden_group_size_y
      - .offset:         96
        .size:           2
        .value_kind:     hidden_group_size_z
      - .offset:         98
        .size:           2
        .value_kind:     hidden_remainder_x
      - .offset:         100
        .size:           2
        .value_kind:     hidden_remainder_y
      - .offset:         102
        .size:           2
        .value_kind:     hidden_remainder_z
      - .offset:         120
        .size:           8
        .value_kind:     hidden_global_offset_x
      - .offset:         128
        .size:           8
        .value_kind:     hidden_global_offset_y
      - .offset:         136
        .size:           8
        .value_kind:     hidden_global_offset_z
      - .offset:         144
        .size:           2
        .value_kind:     hidden_grid_dims
    .group_segment_fixed_size: 0
    .kernarg_segment_align: 8
    .kernarg_segment_size: 336
    .language:       OpenCL C
    .language_version:
      - 2
      - 0
    .max_flat_workgroup_size: 1024
    .name:           _Z14calculateForcePA400_A400_dS1_S1_S1_dddddd
    .private_segment_fixed_size: 0
    .sgpr_count:     26
    .sgpr_spill_count: 0
    .symbol:         _Z14calculateForcePA400_A400_dS1_S1_S1_dddddd.kd
    .uniform_work_group_size: 1
    .uses_dynamic_stack: false
    .vgpr_count:     47
    .vgpr_spill_count: 0
    .wavefront_size: 32
    .workgroup_processor_mode: 1
  - .args:
      - .address_space:  global
        .offset:         0
        .size:           8
        .value_kind:     global_buffer
      - .address_space:  global
        .offset:         8
        .size:           8
        .value_kind:     global_buffer
      - .address_space:  global
        .offset:         16
        .size:           8
        .value_kind:     global_buffer
      - .address_space:  global
        .offset:         24
        .size:           8
        .value_kind:     global_buffer
      - .address_space:  global
        .offset:         32
        .size:           8
        .value_kind:     global_buffer
      - .address_space:  global
        .offset:         40
        .size:           8
        .value_kind:     global_buffer
      - .offset:         48
        .size:           8
        .value_kind:     by_value
      - .offset:         56
        .size:           8
        .value_kind:     by_value
      - .offset:         64
        .size:           8
        .value_kind:     by_value
      - .offset:         72
        .size:           8
        .value_kind:     by_value
      - .offset:         80
        .size:           8
        .value_kind:     by_value
      - .offset:         88
        .size:           8
        .value_kind:     by_value
      - .offset:         96
        .size:           8
        .value_kind:     by_value
      - .offset:         104
        .size:           8
        .value_kind:     by_value
      - .offset:         112
        .size:           4
        .value_kind:     hidden_block_count_x
      - .offset:         116
        .size:           4
        .value_kind:     hidden_block_count_y
      - .offset:         120
        .size:           4
        .value_kind:     hidden_block_count_z
      - .offset:         124
        .size:           2
        .value_kind:     hidden_group_size_x
      - .offset:         126
        .size:           2
        .value_kind:     hidden_group_size_y
      - .offset:         128
        .size:           2
        .value_kind:     hidden_group_size_z
      - .offset:         130
        .size:           2
        .value_kind:     hidden_remainder_x
      - .offset:         132
        .size:           2
        .value_kind:     hidden_remainder_y
      - .offset:         134
        .size:           2
        .value_kind:     hidden_remainder_z
      - .offset:         152
        .size:           8
        .value_kind:     hidden_global_offset_x
      - .offset:         160
        .size:           8
        .value_kind:     hidden_global_offset_y
      - .offset:         168
        .size:           8
        .value_kind:     hidden_global_offset_z
      - .offset:         176
        .size:           2
        .value_kind:     hidden_grid_dims
    .group_segment_fixed_size: 0
    .kernarg_segment_align: 8
    .kernarg_segment_size: 368
    .language:       OpenCL C
    .language_version:
      - 2
      - 0
    .max_flat_workgroup_size: 1024
    .name:           _Z9allenCahnPA400_A400_dS1_S1_S1_S1_S1_dddddddd
    .private_segment_fixed_size: 0
    .sgpr_count:     30
    .sgpr_spill_count: 0
    .symbol:         _Z9allenCahnPA400_A400_dS1_S1_S1_S1_S1_dddddddd.kd
    .uniform_work_group_size: 1
    .uses_dynamic_stack: false
    .vgpr_count:     54
    .vgpr_spill_count: 0
    .wavefront_size: 32
    .workgroup_processor_mode: 1
  - .args:
      - .address_space:  global
        .offset:         0
        .size:           8
        .value_kind:     global_buffer
      - .offset:         8
        .size:           4
        .value_kind:     hidden_block_count_x
      - .offset:         12
        .size:           4
        .value_kind:     hidden_block_count_y
      - .offset:         16
        .size:           4
        .value_kind:     hidden_block_count_z
      - .offset:         20
        .size:           2
        .value_kind:     hidden_group_size_x
      - .offset:         22
        .size:           2
        .value_kind:     hidden_group_size_y
      - .offset:         24
        .size:           2
        .value_kind:     hidden_group_size_z
      - .offset:         26
        .size:           2
        .value_kind:     hidden_remainder_x
      - .offset:         28
        .size:           2
        .value_kind:     hidden_remainder_y
      - .offset:         30
        .size:           2
        .value_kind:     hidden_remainder_z
      - .offset:         48
        .size:           8
        .value_kind:     hidden_global_offset_x
      - .offset:         56
        .size:           8
        .value_kind:     hidden_global_offset_y
      - .offset:         64
        .size:           8
        .value_kind:     hidden_global_offset_z
      - .offset:         72
        .size:           2
        .value_kind:     hidden_grid_dims
    .group_segment_fixed_size: 0
    .kernarg_segment_align: 8
    .kernarg_segment_size: 264
    .language:       OpenCL C
    .language_version:
      - 2
      - 0
    .max_flat_workgroup_size: 1024
    .name:           _Z21boundaryConditionsPhiPA400_A400_d
    .private_segment_fixed_size: 0
    .sgpr_count:     18
    .sgpr_spill_count: 0
    .symbol:         _Z21boundaryConditionsPhiPA400_A400_d.kd
    .uniform_work_group_size: 1
    .uses_dynamic_stack: false
    .vgpr_count:     8
    .vgpr_spill_count: 0
    .wavefront_size: 32
    .workgroup_processor_mode: 1
  - .args:
      - .address_space:  global
        .offset:         0
        .size:           8
        .value_kind:     global_buffer
      - .address_space:  global
        .offset:         8
        .size:           8
        .value_kind:     global_buffer
      - .address_space:  global
        .offset:         16
        .size:           8
        .value_kind:     global_buffer
      - .address_space:  global
        .offset:         24
        .size:           8
        .value_kind:     global_buffer
      - .offset:         32
        .size:           8
        .value_kind:     by_value
      - .offset:         40
        .size:           8
        .value_kind:     by_value
      - .offset:         48
        .size:           8
        .value_kind:     by_value
      - .offset:         56
        .size:           8
        .value_kind:     by_value
      - .offset:         64
        .size:           8
        .value_kind:     by_value
      - .offset:         72
        .size:           4
        .value_kind:     hidden_block_count_x
      - .offset:         76
        .size:           4
        .value_kind:     hidden_block_count_y
      - .offset:         80
        .size:           4
        .value_kind:     hidden_block_count_z
      - .offset:         84
        .size:           2
        .value_kind:     hidden_group_size_x
      - .offset:         86
        .size:           2
        .value_kind:     hidden_group_size_y
      - .offset:         88
        .size:           2
        .value_kind:     hidden_group_size_z
      - .offset:         90
        .size:           2
        .value_kind:     hidden_remainder_x
      - .offset:         92
        .size:           2
        .value_kind:     hidden_remainder_y
      - .offset:         94
        .size:           2
        .value_kind:     hidden_remainder_z
      - .offset:         112
        .size:           8
        .value_kind:     hidden_global_offset_x
      - .offset:         120
        .size:           8
        .value_kind:     hidden_global_offset_y
      - .offset:         128
        .size:           8
        .value_kind:     hidden_global_offset_z
      - .offset:         136
        .size:           2
        .value_kind:     hidden_grid_dims
    .group_segment_fixed_size: 0
    .kernarg_segment_align: 8
    .kernarg_segment_size: 328
    .language:       OpenCL C
    .language_version:
      - 2
      - 0
    .max_flat_workgroup_size: 1024
    .name:           _Z15thermalEquationPA400_A400_dS1_S1_S1_ddddd
    .private_segment_fixed_size: 0
    .sgpr_count:     22
    .sgpr_spill_count: 0
    .symbol:         _Z15thermalEquationPA400_A400_dS1_S1_S1_ddddd.kd
    .uniform_work_group_size: 1
    .uses_dynamic_stack: false
    .vgpr_count:     46
    .vgpr_spill_count: 0
    .wavefront_size: 32
    .workgroup_processor_mode: 1
  - .args:
      - .address_space:  global
        .offset:         0
        .size:           8
        .value_kind:     global_buffer
      - .offset:         8
        .size:           8
        .value_kind:     by_value
      - .offset:         16
        .size:           4
        .value_kind:     hidden_block_count_x
      - .offset:         20
        .size:           4
        .value_kind:     hidden_block_count_y
      - .offset:         24
        .size:           4
        .value_kind:     hidden_block_count_z
      - .offset:         28
        .size:           2
        .value_kind:     hidden_group_size_x
      - .offset:         30
        .size:           2
        .value_kind:     hidden_group_size_y
      - .offset:         32
        .size:           2
        .value_kind:     hidden_group_size_z
      - .offset:         34
        .size:           2
        .value_kind:     hidden_remainder_x
      - .offset:         36
        .size:           2
        .value_kind:     hidden_remainder_y
      - .offset:         38
        .size:           2
        .value_kind:     hidden_remainder_z
      - .offset:         56
        .size:           8
        .value_kind:     hidden_global_offset_x
      - .offset:         64
        .size:           8
        .value_kind:     hidden_global_offset_y
      - .offset:         72
        .size:           8
        .value_kind:     hidden_global_offset_z
      - .offset:         80
        .size:           2
        .value_kind:     hidden_grid_dims
    .group_segment_fixed_size: 0
    .kernarg_segment_align: 8
    .kernarg_segment_size: 272
    .language:       OpenCL C
    .language_version:
      - 2
      - 0
    .max_flat_workgroup_size: 1024
    .name:           _Z19boundaryConditionsUPA400_A400_dd
    .private_segment_fixed_size: 0
    .sgpr_count:     18
    .sgpr_spill_count: 0
    .symbol:         _Z19boundaryConditionsUPA400_A400_dd.kd
    .uniform_work_group_size: 1
    .uses_dynamic_stack: false
    .vgpr_count:     8
    .vgpr_spill_count: 0
    .wavefront_size: 32
    .workgroup_processor_mode: 1
  - .args:
      - .address_space:  global
        .offset:         0
        .size:           8
        .value_kind:     global_buffer
      - .address_space:  global
        .offset:         8
        .size:           8
        .value_kind:     global_buffer
      - .offset:         16
        .size:           4
        .value_kind:     hidden_block_count_x
      - .offset:         20
        .size:           4
        .value_kind:     hidden_block_count_y
      - .offset:         24
        .size:           4
        .value_kind:     hidden_block_count_z
      - .offset:         28
        .size:           2
        .value_kind:     hidden_group_size_x
      - .offset:         30
        .size:           2
        .value_kind:     hidden_group_size_y
      - .offset:         32
        .size:           2
        .value_kind:     hidden_group_size_z
      - .offset:         34
        .size:           2
        .value_kind:     hidden_remainder_x
      - .offset:         36
        .size:           2
        .value_kind:     hidden_remainder_y
      - .offset:         38
        .size:           2
        .value_kind:     hidden_remainder_z
      - .offset:         56
        .size:           8
        .value_kind:     hidden_global_offset_x
      - .offset:         64
        .size:           8
        .value_kind:     hidden_global_offset_y
      - .offset:         72
        .size:           8
        .value_kind:     hidden_global_offset_z
      - .offset:         80
        .size:           2
        .value_kind:     hidden_grid_dims
    .group_segment_fixed_size: 0
    .kernarg_segment_align: 8
    .kernarg_segment_size: 272
    .language:       OpenCL C
    .language_version:
      - 2
      - 0
    .max_flat_workgroup_size: 1024
    .name:           _Z8swapGridPA400_A400_dS1_
    .private_segment_fixed_size: 0
    .sgpr_count:     18
    .sgpr_spill_count: 0
    .symbol:         _Z8swapGridPA400_A400_dS1_.kd
    .uniform_work_group_size: 1
    .uses_dynamic_stack: false
    .vgpr_count:     10
    .vgpr_spill_count: 0
    .wavefront_size: 32
    .workgroup_processor_mode: 1
amdhsa.target:   amdgcn-amd-amdhsa--gfx1100
amdhsa.version:
  - 1
  - 2
...

	.end_amdgpu_metadata
